;; amdgpu-corpus repo=ROCm/rccl kind=compiled arch=gfx90a opt=O3
	.text
	.amdgcn_target "amdgcn-amd-amdhsa--gfx90a"
	.amdhsa_code_object_version 6
	.p2align	2                               ; -- Begin function _ZN12_GLOBAL__N_17runRingIa7FuncSumIaE7ProtoLLLi0ELi1ELi0EEEviiP15ncclDevWorkColl
	.type	_ZN12_GLOBAL__N_17runRingIa7FuncSumIaE7ProtoLLLi0ELi1ELi0EEEviiP15ncclDevWorkColl,@function
_ZN12_GLOBAL__N_17runRingIa7FuncSumIaE7ProtoLLLi0ELi1ELi0EEEviiP15ncclDevWorkColl: ; @_ZN12_GLOBAL__N_17runRingIa7FuncSumIaE7ProtoLLLi0ELi1ELi0EEEviiP15ncclDevWorkColl
; %bb.0:
	s_waitcnt vmcnt(0) expcnt(0) lgkmcnt(0)
	s_or_saveexec_b64 s[4:5], -1
	buffer_store_dword v63, off, s[0:3], s32 offset:24 ; 4-byte Folded Spill
	s_mov_b64 exec, s[4:5]
	v_accvgpr_write_b32 a23, v40            ;  Reload Reuse
	v_accvgpr_write_b32 a24, v41            ;  Reload Reuse
	;; [unrolled: 1-line block ×9, first 2 shown]
	buffer_store_dword v57, off, s[0:3], s32 offset:20 ; 4-byte Folded Spill
	buffer_store_dword v58, off, s[0:3], s32 offset:16 ; 4-byte Folded Spill
	;; [unrolled: 1-line block ×5, first 2 shown]
	buffer_store_dword v62, off, s[0:3], s32 ; 4-byte Folded Spill
	v_writelane_b32 v63, s34, 0
	v_writelane_b32 v63, s35, 1
	;; [unrolled: 1-line block ×28, first 2 shown]
	s_trap 2
	ds_read_b64 v[4:5], v0
	flat_load_ushort v9, v[2:3] offset:8
	flat_load_dwordx2 v[20:21], v[2:3]
	ds_read_b32 v6, v0
	v_mov_b32_e32 v22, v0
                                        ; implicit-def: $vgpr16_vgpr17
                                        ; implicit-def: $agpr0_agpr1
	s_waitcnt lgkmcnt(0)
	flat_load_dwordx2 v[14:15], v[4:5]
                                        ; implicit-def: $vgpr4_vgpr5
	s_waitcnt vmcnt(0)
	v_mov_b32_e32 v8, v21
	v_cmp_ne_u32_sdwa s[4:5], v20, v6 src0_sel:BYTE_0 src1_sel:DWORD
	s_and_saveexec_b64 s[6:7], s[4:5]
	s_xor_b64 s[4:5], exec, s[6:7]
	s_cbranch_execz .LBB0_6
; %bb.1:
	v_not_b32_sdwa v0, v20 dst_sel:DWORD dst_unused:UNUSED_PAD src0_sel:BYTE_0
	v_cmp_ne_u32_sdwa s[6:7], v20, v6 src0_sel:BYTE_1 src1_sel:DWORD
                                        ; implicit-def: $vgpr16_vgpr17
                                        ; implicit-def: $vgpr4_vgpr5
                                        ; implicit-def: $agpr0_agpr1
	s_and_saveexec_b64 s[10:11], s[6:7]
	s_xor_b64 s[6:7], exec, s[10:11]
	s_cbranch_execz .LBB0_3
; %bb.2:
	flat_load_dwordx4 v[10:13], v[2:3] offset:72
	flat_load_dwordx2 v[4:5], v[2:3] offset:96
	v_add_u32_e32 v0, v6, v0
	v_ashrrev_i32_e32 v6, 31, v0
	s_waitcnt vmcnt(0) lgkmcnt(0)
	v_mul_lo_u32 v6, v12, v6
	v_mad_u64_u32 v[10:11], s[10:11], v12, v0, v[10:11]
	v_mul_lo_u32 v0, v13, v0
	v_add3_u32 v11, v0, v11, v6
	v_accvgpr_write_b32 a0, v10
	v_lshrrev_b64 v[16:17], 21, v[4:5]
	v_accvgpr_write_b32 a1, v11
	v_pk_mov_b32 v[4:5], v[12:13], v[12:13] op_sel:[0,1]
                                        ; implicit-def: $vgpr0
.LBB0_3:
	s_andn2_saveexec_b64 s[6:7], s[6:7]
	s_cbranch_execz .LBB0_5
; %bb.4:
	flat_load_dwordx4 v[10:13], v[2:3] offset:72
	flat_load_dwordx4 v[4:7], v[2:3] offset:88
	v_add_u32_sdwa v0, v20, v0 dst_sel:DWORD dst_unused:UNUSED_PAD src0_sel:BYTE_1 src1_sel:DWORD
	s_waitcnt vmcnt(0) lgkmcnt(0)
	v_ashrrev_i32_e32 v6, 31, v0
	v_mul_lo_u32 v6, v12, v6
	v_mad_u64_u32 v[10:11], s[10:11], v12, v0, v[10:11]
	v_mul_lo_u32 v0, v13, v0
	v_add3_u32 v11, v0, v11, v6
	v_accvgpr_write_b32 a0, v10
	v_accvgpr_write_b32 a1, v11
	v_lshrrev_b32_e32 v16, 10, v7
.LBB0_5:
	s_or_b64 exec, exec, s[6:7]
.LBB0_6:
	s_andn2_saveexec_b64 s[4:5], s[4:5]
	s_cbranch_execz .LBB0_8
; %bb.7:
	flat_load_dwordx2 v[4:5], v[2:3] offset:72
	flat_load_dwordx2 v[16:17], v[2:3] offset:96
	v_pk_mov_b32 v[6:7], 0, 0
	v_accvgpr_write_b32 a0, v6
	v_accvgpr_write_b32 a1, v7
.LBB0_8:
	s_or_b64 exec, exec, s[4:5]
	flat_load_dwordx4 v[10:13], v[2:3] offset:16
	s_brev_b32 s4, 34
	v_and_b32_e32 v0, 0x44000000, v20
	v_cmp_eq_u32_e64 s[20:21], s4, v0
	v_cndmask_b32_e64 v2, v1, 64, s[20:21]
	v_bfe_u32 v3, v8, 1, 30
	v_cmp_ge_i32_e32 vcc, v22, v2
	s_and_saveexec_b64 s[4:5], vcc
	s_xor_b64 s[6:7], exec, s[4:5]
	s_cbranch_execz .LBB0_44
; %bb.9:
	s_waitcnt vmcnt(0) lgkmcnt(0)
	v_cmp_ne_u64_e32 vcc, v[12:13], v[10:11]
	v_cmp_eq_u32_e64 s[4:5], v14, v3
	s_and_b64 s[10:11], vcc, s[4:5]
	s_and_saveexec_b64 s[4:5], s[10:11]
	s_cbranch_execz .LBB0_43
; %bb.10:
	v_sub_u32_e32 v23, v22, v2
	v_ashrrev_i32_e32 v0, 31, v23
	v_lshrrev_b32_e32 v0, 26, v0
	v_add_u32_e32 v0, v23, v0
	v_and_b32_e32 v3, 0xffffffc0, v0
	v_sub_u32_e32 v20, v23, v3
	v_cmp_gt_i32_e32 vcc, 1, v20
	v_mov_b32_e32 v3, 0
	s_and_saveexec_b64 s[10:11], vcc
; %bb.11:
	v_accvgpr_read_b32 v7, a1
	v_accvgpr_read_b32 v6, a0
	v_add_u32_e32 v3, v12, v6
	v_add_u32_e32 v6, v10, v6
	v_or_b32_e32 v3, v3, v6
	v_and_b32_e32 v3, 15, v3
	v_cmp_ne_u32_e32 vcc, 0, v3
	v_cndmask_b32_e64 v3, 0, 1, vcc
; %bb.12:
	s_or_b64 exec, exec, s[10:11]
	v_ashrrev_i32_e32 v24, 6, v0
	v_sub_u32_e32 v22, v1, v2
	;;#ASMSTART
	;;#ASMEND
	v_cmp_ne_u32_e32 vcc, 0, v3
	s_cbranch_vccz .LBB0_14
; %bb.13:
	s_mov_b64 s[14:15], -1
	v_pk_mov_b32 v[2:3], 0, 0
	s_and_b64 exec, exec, s[14:15]
	s_cbranch_execnz .LBB0_35
	s_branch .LBB0_43
.LBB0_14:
	v_ashrrev_i32_e32 v0, 31, v5
	v_lshrrev_b32_e32 v0, 22, v0
	v_add_co_u32_e32 v0, vcc, v4, v0
	v_addc_co_u32_e32 v1, vcc, 0, v5, vcc
	v_ashrrev_i64 v[8:9], 10, v[0:1]
	v_and_b32_e32 v0, 0xfffffc00, v0
	v_sub_co_u32_e32 v6, vcc, v4, v0
	v_subb_co_u32_e32 v7, vcc, v5, v1, vcc
	v_mov_b32_e32 v3, 0
	v_cmp_lt_i64_e32 vcc, 15, v[6:7]
	s_and_saveexec_b64 s[10:11], vcc
; %bb.15:
	v_add_co_u32_e32 v8, vcc, 1, v8
	v_addc_co_u32_e32 v9, vcc, 0, v9, vcc
	v_and_b32_e32 v2, 15, v4
	v_sub_co_u32_e32 v0, vcc, v0, v2
	v_subbrev_co_u32_e32 v1, vcc, 0, v1, vcc
	v_add_co_u32_e32 v0, vcc, v0, v6
	v_addc_co_u32_e32 v1, vcc, v1, v7, vcc
	v_pk_mov_b32 v[6:7], v[2:3], v[2:3] op_sel:[0,1]
; %bb.16:
	s_or_b64 exec, exec, s[10:11]
	v_lshlrev_b32_e32 v16, 4, v23
	v_ashrrev_i32_e32 v17, 31, v16
	v_sub_co_u32_e32 v2, vcc, v4, v16
	v_subb_co_u32_e32 v3, vcc, v5, v17, vcc
	v_ashrrev_i32_e32 v4, 31, v24
	v_sub_co_u32_e32 v14, vcc, v8, v24
	v_subb_co_u32_e32 v15, vcc, v9, v4, vcc
	v_cmp_lt_i64_e32 vcc, 15, v[2:3]
	s_and_saveexec_b64 s[10:11], vcc
	s_cbranch_execz .LBB0_20
; %bb.17:
	v_ashrrev_i32_e32 v4, 31, v22
	v_lshrrev_b32_e32 v4, 26, v4
	v_add_u32_e32 v4, v22, v4
	v_ashrrev_i32_e32 v4, 6, v4
	v_lshlrev_b32_e32 v8, 10, v4
	v_add_u32_e32 v5, 0xfffffc00, v8
	v_ashrrev_i32_e32 v9, 31, v5
	v_add_co_u32_e32 v21, vcc, 0x400, v5
	v_accvgpr_read_b32 v19, a1
	v_addc_co_u32_e32 v23, vcc, 0, v9, vcc
	v_accvgpr_read_b32 v18, a0
	v_add_co_u32_e32 v16, vcc, v18, v16
	v_ashrrev_i32_e32 v5, 31, v8
	v_ashrrev_i32_e32 v9, 31, v4
	v_addc_co_u32_e32 v17, vcc, v19, v17, vcc
	s_mov_b64 s[14:15], 0
.LBB0_18:                               ; =>This Inner Loop Header: Depth=1
	v_add_co_u32_e32 v18, vcc, v12, v16
	v_addc_co_u32_e32 v19, vcc, v13, v17, vcc
	global_load_dwordx4 v[24:27], v[18:19], off glc slc
	v_add_co_u32_e32 v18, vcc, v10, v16
	v_addc_co_u32_e32 v19, vcc, v11, v17, vcc
	v_sub_co_u32_e32 v2, vcc, v2, v8
	v_subb_co_u32_e32 v3, vcc, v3, v5, vcc
	v_sub_co_u32_e32 v14, vcc, v14, v4
	v_subb_co_u32_e32 v15, vcc, v15, v9, vcc
	v_add_co_u32_e32 v16, vcc, v16, v21
	v_addc_co_u32_e32 v17, vcc, v17, v23, vcc
	v_cmp_gt_i64_e32 vcc, 16, v[2:3]
	s_or_b64 s[14:15], vcc, s[14:15]
	s_waitcnt vmcnt(0)
	global_store_dwordx4 v[18:19], v[24:27], off glc slc
	s_andn2_b64 exec, exec, s[14:15]
	s_cbranch_execnz .LBB0_18
; %bb.19:
	s_or_b64 exec, exec, s[14:15]
.LBB0_20:
	s_or_b64 exec, exec, s[10:11]
	s_mov_b64 s[14:15], 0
	v_cmp_lt_i64_e32 vcc, 0, v[14:15]
	s_and_saveexec_b64 s[10:11], vcc
; %bb.21:
	v_ashrrev_i32_e32 v2, 31, v22
	v_lshrrev_b32_e32 v2, 26, v2
	v_add_u32_e32 v2, v22, v2
	v_ashrrev_i32_e32 v2, 6, v2
	v_sub_co_u32_e32 v14, vcc, v14, v2
; %bb.22:
	s_or_b64 exec, exec, s[10:11]
	v_cmp_ne_u64_e32 vcc, 0, v[6:7]
	v_pk_mov_b32 v[2:3], 0, 0
                                        ; implicit-def: $vgpr4_vgpr5
                                        ; implicit-def: $vgpr23
                                        ; implicit-def: $vgpr24
	s_and_saveexec_b64 s[10:11], vcc
	s_cbranch_execz .LBB0_34
; %bb.23:
	v_ashrrev_i32_e32 v2, 31, v7
	v_lshrrev_b32_e32 v2, 22, v2
	v_add_co_u32_e32 v4, vcc, v6, v2
	v_addc_co_u32_e32 v5, vcc, 0, v7, vcc
	v_and_b32_e32 v2, 0xfffffc00, v4
	v_add_co_u32_e32 v8, vcc, v2, v0
	v_addc_co_u32_e32 v9, vcc, v5, v1, vcc
	v_ashrrev_i64 v[16:17], 10, v[4:5]
	v_sub_co_u32_e32 v4, vcc, v6, v2
	v_subb_co_u32_e32 v5, vcc, v7, v5, vcc
	v_mov_b32_e32 v3, 0
	v_cmp_lt_i64_e32 vcc, 15, v[4:5]
	s_and_saveexec_b64 s[14:15], vcc
; %bb.24:
	v_add_co_u32_e32 v16, vcc, 1, v16
	v_addc_co_u32_e32 v17, vcc, 0, v17, vcc
	v_and_b32_e32 v2, 15, v6
	v_sub_co_u32_e32 v4, vcc, v4, v2
	v_subbrev_co_u32_e32 v5, vcc, 0, v5, vcc
	v_add_co_u32_e32 v8, vcc, v4, v8
	v_addc_co_u32_e32 v9, vcc, v5, v9, vcc
	v_pk_mov_b32 v[4:5], v[2:3], v[2:3] op_sel:[0,1]
; %bb.25:
	s_or_b64 exec, exec, s[14:15]
	v_lshlrev_b32_e32 v2, 6, v14
	v_sub_u32_e32 v2, v20, v2
	v_ashrrev_i32_e32 v3, 31, v2
	v_lshrrev_b32_e32 v3, 26, v3
	v_add_u32_e32 v3, v2, v3
	v_ashrrev_i32_e32 v14, 6, v3
	v_and_b32_e32 v3, 0xffffffc0, v3
	v_sub_u32_e32 v25, v2, v3
	v_lshlrev_b32_e32 v2, 4, v25
	v_lshl_add_u32 v20, v14, 10, v2
	v_ashrrev_i32_e32 v21, 31, v20
	v_sub_co_u32_e32 v2, vcc, v6, v20
	v_subb_co_u32_e32 v3, vcc, v7, v21, vcc
	v_ashrrev_i32_e32 v7, 31, v14
	v_sub_co_u32_e32 v6, vcc, v16, v14
	v_subb_co_u32_e32 v7, vcc, v17, v7, vcc
	v_cmp_lt_i64_e32 vcc, 15, v[2:3]
	s_and_saveexec_b64 s[14:15], vcc
	s_cbranch_execz .LBB0_29
; %bb.26:
	v_ashrrev_i32_e32 v14, 31, v22
	v_lshrrev_b32_e32 v14, 26, v14
	v_add_u32_e32 v14, v22, v14
	v_ashrrev_i32_e32 v14, 6, v14
	v_lshlrev_b32_e32 v16, 10, v14
	v_add_u32_e32 v15, 0xfffffc00, v16
	v_ashrrev_i32_e32 v17, 31, v15
	v_add_co_u32_e32 v23, vcc, 0x400, v15
	v_accvgpr_read_b32 v19, a1
	v_addc_co_u32_e32 v24, vcc, 0, v17, vcc
	v_accvgpr_read_b32 v18, a0
	v_add_co_u32_e32 v0, vcc, v18, v0
	v_addc_co_u32_e32 v1, vcc, v19, v1, vcc
	v_add_co_u32_e32 v0, vcc, v0, v20
	v_ashrrev_i32_e32 v15, 31, v16
	v_ashrrev_i32_e32 v17, 31, v14
	v_addc_co_u32_e32 v1, vcc, v1, v21, vcc
	s_mov_b64 s[16:17], 0
.LBB0_27:                               ; =>This Inner Loop Header: Depth=1
	v_add_co_u32_e32 v18, vcc, v12, v0
	v_addc_co_u32_e32 v19, vcc, v13, v1, vcc
	global_load_dwordx4 v[26:29], v[18:19], off glc slc
	v_add_co_u32_e32 v18, vcc, v10, v0
	v_addc_co_u32_e32 v19, vcc, v11, v1, vcc
	v_sub_co_u32_e32 v2, vcc, v2, v16
	v_subb_co_u32_e32 v3, vcc, v3, v15, vcc
	v_sub_co_u32_e32 v6, vcc, v6, v14
	v_subb_co_u32_e32 v7, vcc, v7, v17, vcc
	v_add_co_u32_e32 v0, vcc, v0, v23
	v_addc_co_u32_e32 v1, vcc, v1, v24, vcc
	v_cmp_gt_i64_e32 vcc, 16, v[2:3]
	s_or_b64 s[16:17], vcc, s[16:17]
	s_waitcnt vmcnt(0)
	global_store_dwordx4 v[18:19], v[26:29], off glc slc
	s_andn2_b64 exec, exec, s[16:17]
	s_cbranch_execnz .LBB0_27
; %bb.28:
	s_or_b64 exec, exec, s[16:17]
.LBB0_29:
	s_or_b64 exec, exec, s[14:15]
	s_mov_b64 s[14:15], 0
	v_cmp_lt_i64_e32 vcc, 0, v[6:7]
	s_and_saveexec_b64 s[16:17], vcc
; %bb.30:
	v_ashrrev_i32_e32 v0, 31, v22
	v_lshrrev_b32_e32 v0, 26, v0
	v_add_u32_e32 v0, v22, v0
	v_ashrrev_i32_e32 v0, 6, v0
	v_sub_co_u32_e32 v6, vcc, v6, v0
; %bb.31:
	s_or_b64 exec, exec, s[16:17]
	v_cmp_ne_u64_e32 vcc, 0, v[4:5]
	v_pk_mov_b32 v[2:3], 0, 0
                                        ; implicit-def: $vgpr23
                                        ; implicit-def: $vgpr24
	s_and_saveexec_b64 s[16:17], vcc
; %bb.32:
	v_lshlrev_b32_e32 v0, 6, v6
	v_sub_u32_e32 v23, v25, v0
	v_ashrrev_i32_e32 v0, 31, v23
	v_lshrrev_b32_e32 v0, 26, v0
	v_add_u32_e32 v0, v23, v0
	s_mov_b64 s[14:15], exec
	v_ashrrev_i32_e32 v24, 6, v0
	v_pk_mov_b32 v[2:3], v[8:9], v[8:9] op_sel:[0,1]
; %bb.33:
	s_or_b64 exec, exec, s[16:17]
	s_and_b64 s[14:15], s[14:15], exec
.LBB0_34:
	s_or_b64 exec, exec, s[10:11]
	s_and_b64 exec, exec, s[14:15]
	s_cbranch_execz .LBB0_43
.LBB0_35:
	v_ashrrev_i32_e32 v0, 31, v5
	v_lshrrev_b32_e32 v0, 23, v0
	v_add_co_u32_e32 v0, vcc, v4, v0
	v_addc_co_u32_e32 v1, vcc, 0, v5, vcc
	v_ashrrev_i64 v[6:7], 9, v[0:1]
	v_ashrrev_i32_e32 v1, 31, v24
	v_sub_co_u32_e32 v0, vcc, v6, v24
	v_subb_co_u32_e32 v1, vcc, v7, v1, vcc
	s_mov_b64 s[14:15], 0
	v_cmp_lt_i64_e32 vcc, 0, v[0:1]
	s_and_saveexec_b64 s[10:11], vcc
	s_cbranch_execz .LBB0_39
; %bb.36:
	v_ashrrev_i32_e32 v14, 31, v22
	v_lshrrev_b32_e32 v14, 26, v14
	v_add_u32_e32 v14, v22, v14
	v_ashrrev_i32_e32 v14, 6, v14
	v_mov_b32_e32 v15, 0xfffffe00
	v_lshl_add_u32 v16, v14, 9, v15
	s_movk_i32 s13, 0x200
	v_ashrrev_i32_e32 v17, 31, v16
	v_add_co_u32_e32 v25, vcc, s13, v16
	v_addc_co_u32_e32 v26, vcc, 0, v17, vcc
	v_accvgpr_read_b32 v17, a1
	v_ashrrev_i32_e32 v8, 31, v23
	v_accvgpr_read_b32 v16, a0
	v_lshrrev_b32_e32 v8, 26, v8
	v_add_co_u32_e32 v18, vcc, v16, v2
	v_add_u32_e32 v8, v23, v8
	v_addc_co_u32_e32 v19, vcc, v17, v3, vcc
	v_and_b32_e32 v8, 0xffffffc0, v8
	v_add_co_u32_e32 v16, vcc, v18, v12
	v_sub_u32_e32 v8, v23, v8
	v_addc_co_u32_e32 v17, vcc, v19, v13, vcc
	v_lshl_add_u32 v8, v24, 9, v8
	v_add_co_u32_e32 v20, vcc, v18, v10
	v_ashrrev_i32_e32 v9, 31, v8
	v_ashrrev_i32_e32 v15, 31, v14
	v_addc_co_u32_e32 v21, vcc, v19, v11, vcc
.LBB0_37:                               ; =>This Inner Loop Header: Depth=1
	v_add_co_u32_e32 v18, vcc, v8, v16
	v_addc_co_u32_e32 v19, vcc, v9, v17, vcc
	flat_load_ubyte v27, v[18:19] glc slc
	flat_load_ubyte v28, v[18:19] offset:64 glc slc
	flat_load_ubyte v29, v[18:19] offset:128 glc slc
	;; [unrolled: 1-line block ×7, first 2 shown]
	v_add_co_u32_e32 v18, vcc, v8, v20
	v_addc_co_u32_e32 v19, vcc, v9, v21, vcc
	v_sub_co_u32_e32 v0, vcc, v0, v14
	v_subb_co_u32_e32 v1, vcc, v1, v15, vcc
	v_add_co_u32_e32 v16, vcc, v16, v25
	v_addc_co_u32_e32 v17, vcc, v17, v26, vcc
	v_add_co_u32_e32 v20, vcc, v20, v25
	v_addc_co_u32_e32 v21, vcc, v21, v26, vcc
	v_cmp_gt_i64_e32 vcc, 1, v[0:1]
	s_or_b64 s[14:15], vcc, s[14:15]
	s_waitcnt vmcnt(0) lgkmcnt(0)
	flat_store_byte v[18:19], v27 glc slc
	flat_store_byte v[18:19], v28 offset:64 glc slc
	flat_store_byte v[18:19], v29 offset:128 glc slc
	;; [unrolled: 1-line block ×7, first 2 shown]
	s_andn2_b64 exec, exec, s[14:15]
	s_cbranch_execnz .LBB0_37
; %bb.38:
	s_or_b64 exec, exec, s[14:15]
.LBB0_39:
	s_or_b64 exec, exec, s[10:11]
	v_lshlrev_b64 v[6:7], 9, v[6:7]
	v_cmp_ne_u64_e32 vcc, v[4:5], v[6:7]
	s_and_b64 exec, exec, vcc
	s_cbranch_execz .LBB0_43
; %bb.40:
	v_lshlrev_b32_e32 v1, 6, v24
	v_sub_u32_e32 v1, v23, v1
	v_lshlrev_b32_e32 v0, 6, v0
	v_sub_u32_e32 v8, v1, v0
	v_ashrrev_i32_e32 v9, 31, v8
	v_add_co_u32_e32 v0, vcc, v6, v8
	v_addc_co_u32_e32 v1, vcc, v7, v9, vcc
	v_sub_co_u32_e32 v0, vcc, v4, v0
	v_subb_co_u32_e32 v1, vcc, v5, v1, vcc
	s_mov_b64 s[10:11], 0
	v_cmp_lt_i64_e32 vcc, 0, v[0:1]
	s_and_b64 exec, exec, vcc
	s_cbranch_execz .LBB0_43
; %bb.41:
	v_ashrrev_i32_e32 v4, 31, v22
	v_lshrrev_b32_e32 v4, 26, v4
	v_add_u32_e32 v4, v22, v4
	v_and_b32_e32 v4, 0xffffffc0, v4
	v_subrev_u32_e32 v5, 64, v4
	v_ashrrev_i32_e32 v15, 31, v5
	v_add_co_u32_e32 v14, vcc, 64, v5
	v_accvgpr_read_b32 v17, a1
	v_addc_co_u32_e32 v15, vcc, 0, v15, vcc
	v_accvgpr_read_b32 v16, a0
	v_add_co_u32_e32 v2, vcc, v16, v2
	v_addc_co_u32_e32 v3, vcc, v17, v3, vcc
	v_add_co_u32_e32 v2, vcc, v2, v6
	v_addc_co_u32_e32 v3, vcc, v3, v7, vcc
	v_add_co_u32_e32 v2, vcc, v2, v8
	v_ashrrev_i32_e32 v5, 31, v4
	v_addc_co_u32_e32 v3, vcc, v3, v9, vcc
.LBB0_42:                               ; =>This Inner Loop Header: Depth=1
	v_add_co_u32_e32 v6, vcc, v12, v2
	v_addc_co_u32_e32 v7, vcc, v13, v3, vcc
	flat_load_ubyte v8, v[6:7] glc slc
	v_add_co_u32_e32 v6, vcc, v10, v2
	v_addc_co_u32_e32 v7, vcc, v11, v3, vcc
	v_sub_co_u32_e32 v0, vcc, v0, v4
	v_subb_co_u32_e32 v1, vcc, v1, v5, vcc
	v_add_co_u32_e32 v2, vcc, v2, v14
	v_addc_co_u32_e32 v3, vcc, v3, v15, vcc
	v_cmp_gt_i64_e32 vcc, 1, v[0:1]
	s_or_b64 s[10:11], vcc, s[10:11]
	s_waitcnt vmcnt(0) lgkmcnt(0)
	flat_store_byte v[6:7], v8 glc slc
	s_andn2_b64 exec, exec, s[10:11]
	s_cbranch_execnz .LBB0_42
.LBB0_43:
	s_or_b64 exec, exec, s[4:5]
                                        ; implicit-def: $vgpr14_vgpr15
                                        ; implicit-def: $agpr0_agpr1
                                        ; implicit-def: $vgpr4_vgpr5
                                        ; implicit-def: $vgpr16_vgpr17
                                        ; implicit-def: $vgpr3
                                        ; implicit-def: $vgpr2
                                        ; implicit-def: $vgpr22
                                        ; implicit-def: $vgpr31
                                        ; implicit-def: $vgpr12_vgpr13
                                        ; implicit-def: $vgpr8_vgpr9
.LBB0_44:
	s_andn2_saveexec_b64 s[22:23], s[6:7]
	s_cbranch_execz .LBB0_352
; %bb.45:
	s_load_dword s4, s[8:9], 0x0
	v_mov_b32_e32 v1, 0
	v_lshrrev_b64 v[6:7], 31, v[8:9]
	v_ashrrev_i32_e32 v23, 31, v22
	v_and_b32_e32 v9, 3, v6
	s_waitcnt lgkmcnt(0)
	s_cmp_lt_u32 s12, s4
	s_cselect_b32 s4, 12, 18
	s_add_u32 s4, s8, s4
	s_addc_u32 s5, s9, 0
	global_load_ushort v17, v1, s[4:5]
	s_trap 2
	ds_read_b32 v0, v0
	v_lshrrev_b32_e32 v6, 26, v23
	v_add_u32_e32 v6, v22, v6
	v_and_b32_e32 v6, 0xffffffc0, v6
	v_sub_u32_e32 v8, v22, v6
	s_waitcnt lgkmcnt(0)
	v_cmp_gt_i32_e32 vcc, 0, v0
	s_mov_b32 s6, 0
	v_pk_mov_b32 v[18:19], 0, 0
	v_cmp_eq_u32_e64 s[4:5], 0, v8
	s_cbranch_vccnz .LBB0_47
; %bb.46:
	s_trap 2
	ds_read_b64 v[6:7], v0
	v_lshlrev_b64 v[20:21], 3, v[0:1]
	v_and_b32_e32 v1, 0xffff, v9
	s_movk_i32 s6, 0xa8
	s_waitcnt lgkmcnt(0)
	v_add_co_u32_e32 v6, vcc, v6, v20
	v_addc_co_u32_e32 v7, vcc, v7, v21, vcc
	flat_load_dwordx2 v[6:7], v[6:7]
	s_waitcnt vmcnt(0) lgkmcnt(0)
	v_mad_u64_u32 v[6:7], s[6:7], v1, s6, v[6:7]
	flat_load_dwordx2 a[8:9], v[6:7] offset:504
	flat_load_dwordx2 v[26:27], v[6:7] offset:608
	v_add_co_u32_e32 v1, vcc, 0x1f8, v6
	v_addc_co_u32_e32 v6, vcc, 0, v7, vcc
	v_cndmask_b32_e64 v25, 0, v6, s[4:5]
	v_cndmask_b32_e64 v24, 0, v1, s[4:5]
	s_mov_b32 s6, 1
	s_branch .LBB0_48
.LBB0_47:
	v_pk_mov_b32 v[24:25], v[18:19], v[18:19] op_sel:[0,1]
                                        ; implicit-def: $vgpr26_vgpr27
                                        ; implicit-def: $agpr8_agpr9
.LBB0_48:
	s_trap 2
	ds_read_b32 v6, v0
	s_waitcnt lgkmcnt(0)
	v_cmp_gt_i32_e32 vcc, 0, v6
	s_cbranch_vccnz .LBB0_50
; %bb.49:
	s_trap 2
	ds_read_b64 v[20:21], v0
	v_mov_b32_e32 v7, 0
	v_lshlrev_b64 v[6:7], 3, v[6:7]
	v_and_b32_e32 v1, 0xffff, v9
	s_movk_i32 s4, 0xa8
	s_waitcnt lgkmcnt(0)
	v_add_co_u32_e32 v6, vcc, v20, v6
	v_addc_co_u32_e32 v7, vcc, v21, v7, vcc
	flat_load_dwordx2 v[6:7], v[6:7]
	v_cmp_eq_u32_e32 vcc, 0, v8
	s_waitcnt vmcnt(0) lgkmcnt(0)
	v_mad_u64_u32 v[6:7], s[4:5], v1, s4, v[6:7]
	flat_load_dwordx2 a[10:11], v[6:7]
	flat_load_dwordx2 v[32:33], v[6:7] offset:104
	v_cndmask_b32_e32 v19, 0, v7, vcc
	v_cndmask_b32_e32 v18, 0, v6, vcc
	s_branch .LBB0_51
.LBB0_50:
                                        ; implicit-def: $vgpr32_vgpr33
                                        ; implicit-def: $agpr10_agpr11
.LBB0_51:
	v_subrev_u32_e32 v1, 64, v2
	v_pk_mov_b32 v[6:7], 0, 0
	v_cmp_le_i32_e32 vcc, v1, v22
	v_cmp_gt_i32_e64 s[4:5], s6, v8
	v_accvgpr_write_b32 a13, v7
	s_and_b64 s[24:25], vcc, s[4:5]
	v_accvgpr_write_b32 a12, v6
                                        ; implicit-def: $vgpr34_vgpr35
	s_and_saveexec_b64 s[4:5], s[24:25]
	s_cbranch_execz .LBB0_53
; %bb.52:
	flat_load_dwordx2 a[12:13], v[24:25] offset:56
	flat_load_dwordx2 v[34:35], v[24:25] offset:104
.LBB0_53:
	s_or_b64 exec, exec, s[4:5]
	v_cmp_gt_i32_e64 s[4:5], s6, v22
	v_pk_mov_b32 v[38:39], v[6:7], v[6:7] op_sel:[0,1]
                                        ; implicit-def: $vgpr48_vgpr49
	s_and_saveexec_b64 s[6:7], s[4:5]
	s_cbranch_execz .LBB0_55
; %bb.54:
	flat_load_dwordx2 v[38:39], v[18:19] offset:56
	s_waitcnt vmcnt(0) lgkmcnt(0)
	flat_load_dwordx2 v[48:49], v[38:39] glc
	s_waitcnt vmcnt(0)
	flat_load_dwordx4 v[6:9], v[18:19] offset:96
.LBB0_55:
	s_or_b64 exec, exec, s[6:7]
	s_waitcnt vmcnt(0)
	v_cmp_ne_u64_e32 vcc, 0, v[4:5]
	v_pk_mov_b32 v[40:41], 0, 0
	s_and_saveexec_b64 s[26:27], vcc
	s_cbranch_execnz .LBB0_59
; %bb.56:
	s_or_b64 exec, exec, s[26:27]
	s_and_saveexec_b64 s[6:7], s[24:25]
	s_cbranch_execnz .LBB0_332
.LBB0_57:
	s_or_b64 exec, exec, s[6:7]
	s_and_saveexec_b64 s[6:7], s[4:5]
	s_cbranch_execnz .LBB0_333
.LBB0_58:
	s_or_b64 exec, exec, s[6:7]
	v_cmp_ne_u32_e32 vcc, 64, v2
	s_and_saveexec_b64 s[4:5], vcc
	s_cbranch_execnz .LBB0_334
	s_branch .LBB0_351
.LBB0_59:
	v_ashrrev_i32_e32 v1, 31, v0
	v_lshrrev_b32_e32 v1, 29, v1
	v_add_u32_e32 v0, v0, v1
	v_ashrrev_i32_e32 v62, 7, v0
	v_lshlrev_b32_e32 v0, 4, v16
	v_and_b32_e32 v30, 0x1fffff0, v0
	v_cvt_f64_u32_e32 v[0:1], 0
	v_accvgpr_write_b32 a4, v18
	v_ldexp_f64 v[0:1], v[0:1], 32
	v_cvt_f64_u32_e32 v[20:21], v30
	v_accvgpr_write_b32 a5, v19
	v_add_f64 v[18:19], v[0:1], v[20:21]
	v_cmp_ne_u32_e64 s[6:7], v14, v3
	v_cmp_ne_u32_e64 s[8:9], v15, v3
	v_and_b32_e32 v0, 63, v31
	v_ashrrev_i32_e32 v3, 31, v2
	v_cmp_eq_u32_e64 s[16:17], 0, v0
	v_lshrrev_b32_e32 v0, 26, v3
	v_add_u32_e32 v0, v2, v0
	v_ashrrev_i32_e32 v0, 6, v0
	v_lshlrev_b32_e32 v42, 3, v22
	v_accvgpr_write_b32 a16, v0
	v_ashrrev_i32_e32 v1, 31, v0
	v_ashrrev_i32_e32 v43, 31, v42
	v_add_co_u32_e32 v0, vcc, v10, v42
	v_accvgpr_write_b32 a18, v0
	v_addc_co_u32_e32 v0, vcc, v11, v43, vcc
	v_accvgpr_read_b32 v15, a1
	v_cmp_ne_u64_e32 vcc, v[12:13], v[10:11]
	s_xor_b64 s[20:21], s[20:21], -1
	v_accvgpr_read_b32 v14, a0
	s_and_b64 s[34:35], s[20:21], vcc
	v_add_co_u32_e32 v56, vcc, v14, v12
	v_addc_co_u32_e32 v57, vcc, v15, v13, vcc
	v_accvgpr_write_b32 a17, v1
	v_accvgpr_write_b32 a19, v0
	s_waitcnt lgkmcnt(0)
	v_accvgpr_read_b32 v0, a12
	v_add_co_u32_e32 v58, vcc, v56, v42
	v_accvgpr_read_b32 v1, a13
	v_addc_co_u32_e32 v59, vcc, v57, v43, vcc
	v_cmp_ne_u64_e64 s[18:19], 0, v[0:1]
	v_and_b32_e32 v0, 0x1fffff, v16
	v_add_co_u32_e32 v60, vcc, v10, v14
	v_lshlrev_b32_e32 v29, 7, v0
	v_addc_co_u32_e32 v61, vcc, v11, v15, vcc
	v_lshlrev_b64 v[0:1], 4, v[22:23]
	v_accvgpr_read_b32 v10, a10
	v_accvgpr_read_b32 v11, a11
	v_add_co_u32_e32 v0, vcc, v10, v0
	v_accvgpr_write_b32 a6, v24
	v_lshlrev_b32_e32 v44, 3, v2
	v_accvgpr_write_b32 a21, v0
	v_addc_co_u32_e32 v0, vcc, v11, v1, vcc
	v_pk_mov_b32 v[50:51], 0, 0
	v_accvgpr_write_b32 a14, v18
	v_accvgpr_write_b32 a7, v25
	v_mov_b32_e32 v53, 0
	s_mov_b64 s[28:29], 0
	v_cmp_ne_u64_e64 s[10:11], 0, v[38:39]
	v_cmp_ne_u64_e64 s[12:13], 0, v[6:7]
	v_cmp_ne_u32_e64 s[14:15], 64, v2
	v_accvgpr_write_b32 a3, v17
	v_cmp_ne_u32_sdwa s[30:31], v2, v17 src0_sel:DWORD src1_sel:WORD_0
	v_accvgpr_write_b32 a2, v31
	v_ashrrev_i32_e32 v45, 31, v44
	v_lshlrev_b64 v[46:47], 4, v[2:3]
	v_lshlrev_b32_e32 v3, 3, v58
	v_lshlrev_b32_e32 v24, 6, v2
	v_accvgpr_write_b32 a22, v0
	s_movk_i32 s58, 0x2710
	s_mov_b64 s[36:37], 0x7ffffff8
	v_mov_b32_e32 v23, 0
	v_pk_mov_b32 v[40:41], v[50:51], v[50:51] op_sel:[0,1]
	v_accvgpr_write_b32 a15, v19
	v_accvgpr_write_b32 a20, v29
	s_branch .LBB0_63
.LBB0_60:                               ;   in Loop: Header=BB0_63 Depth=1
	s_or_b64 exec, exec, s[42:43]
	v_add_co_u32_e32 v32, vcc, 1, v32
	v_addc_co_u32_e32 v33, vcc, 0, v33, vcc
.LBB0_61:                               ;   in Loop: Header=BB0_63 Depth=1
	s_or_b64 exec, exec, s[40:41]
.LBB0_62:                               ;   in Loop: Header=BB0_63 Depth=1
	s_or_b64 exec, exec, s[38:39]
	v_add_co_u32_e32 v50, vcc, v50, v30
	v_addc_co_u32_e32 v51, vcc, 0, v51, vcc
	v_add_co_u32_e32 v56, vcc, v56, v30
	v_addc_co_u32_e32 v57, vcc, 0, v57, vcc
	;; [unrolled: 2-line block ×3, first 2 shown]
	v_cmp_ge_u64_e32 vcc, v[50:51], v[4:5]
	s_or_b64 s[28:29], vcc, s[28:29]
	v_add_co_u32_e32 v58, vcc, v58, v30
	v_add_u32_e32 v3, v3, v29
	v_addc_co_u32_e32 v59, vcc, 0, v59, vcc
	s_andn2_b64 exec, exec, s[28:29]
	s_cbranch_execz .LBB0_331
.LBB0_63:                               ; =>This Loop Header: Depth=1
                                        ;     Child Loop BB0_72 Depth 2
                                        ;     Child Loop BB0_89 Depth 2
	;; [unrolled: 1-line block ×3, first 2 shown]
                                        ;       Child Loop BB0_134 Depth 3
                                        ;     Child Loop BB0_200 Depth 2
                                        ;     Child Loop BB0_106 Depth 2
	;; [unrolled: 1-line block ×3, first 2 shown]
                                        ;       Child Loop BB0_166 Depth 3
                                        ;     Child Loop BB0_212 Depth 2
                                        ;     Child Loop BB0_124 Depth 2
	;; [unrolled: 1-line block ×9, first 2 shown]
	v_sub_co_u32_e32 v10, vcc, v4, v50
	v_subb_co_u32_e32 v0, vcc, v5, v51, vcc
	v_cvt_f64_u32_e32 v[0:1], v0
	v_ldexp_f64 v[0:1], v[0:1], 32
	v_cvt_f64_u32_e32 v[10:11], v10
	v_add_f64 v[0:1], v[0:1], v[10:11]
	v_max_f64 v[10:11], v[18:19], v[18:19]
	v_min_f64 v[0:1], v[10:11], v[0:1]
	v_cvt_i32_f64_e32 v0, v[0:1]
	v_max_i32_e32 v10, 0, v0
	s_and_saveexec_b64 s[20:21], s[6:7]
	s_xor_b64 s[38:39], exec, s[20:21]
	s_cbranch_execz .LBB0_114
; %bb.64:                               ;   in Loop: Header=BB0_63 Depth=1
	v_accvgpr_read_b32 v0, a0
	v_accvgpr_read_b32 v1, a1
	v_add_co_u32_e32 v11, vcc, v50, v0
	v_addc_co_u32_e32 v12, vcc, v51, v1, vcc
	s_and_saveexec_b64 s[20:21], s[8:9]
	s_xor_b64 s[40:41], exec, s[20:21]
	s_cbranch_execz .LBB0_108
; %bb.65:                               ;   in Loop: Header=BB0_63 Depth=1
	s_and_saveexec_b64 s[20:21], s[10:11]
	s_cbranch_execz .LBB0_81
; %bb.66:                               ;   in Loop: Header=BB0_63 Depth=1
	v_add_co_u32_e32 v0, vcc, 1, v8
	v_addc_co_u32_e32 v1, vcc, 0, v9, vcc
	s_waitcnt vmcnt(0) lgkmcnt(0)
	v_add_co_u32_e32 v14, vcc, 8, v48
	v_addc_co_u32_e32 v15, vcc, 0, v49, vcc
	v_cmp_lt_u64_e32 vcc, v[14:15], v[0:1]
	s_and_saveexec_b64 s[42:43], vcc
	s_cbranch_execz .LBB0_78
; %bb.67:                               ;   in Loop: Header=BB0_63 Depth=1
	s_sleep 1
	flat_load_dwordx2 v[48:49], v[38:39] glc
	v_cmp_eq_u32_e32 vcc, 0, v23
	s_and_saveexec_b64 s[44:45], vcc
	s_cbranch_execz .LBB0_77
; %bb.68:                               ;   in Loop: Header=BB0_63 Depth=1
	v_cndmask_b32_e64 v9, 0, 1, vcc
	s_mov_b64 s[46:47], 0
                                        ; implicit-def: $sgpr48_sgpr49
	s_branch .LBB0_72
.LBB0_69:                               ;   in Loop: Header=BB0_72 Depth=2
	s_or_b64 exec, exec, s[56:57]
	s_orn2_b64 s[54:55], s[54:55], exec
.LBB0_70:                               ;   in Loop: Header=BB0_72 Depth=2
	s_or_b64 exec, exec, s[52:53]
	s_xor_b64 vcc, s[54:55], -1
	s_andn2_b64 s[48:49], s[48:49], exec
	s_and_b64 vcc, vcc, exec
	s_or_b64 s[48:49], s[48:49], vcc
.LBB0_71:                               ;   in Loop: Header=BB0_72 Depth=2
	s_or_b64 exec, exec, s[50:51]
	s_and_b64 vcc, exec, s[48:49]
	s_or_b64 s[46:47], vcc, s[46:47]
	s_andn2_b64 exec, exec, s[46:47]
	s_cbranch_execz .LBB0_76
.LBB0_72:                               ;   Parent Loop BB0_63 Depth=1
                                        ; =>  This Inner Loop Header: Depth=2
	s_waitcnt vmcnt(0) lgkmcnt(0)
	v_add_co_u32_e32 v14, vcc, 8, v48
	v_addc_co_u32_e32 v15, vcc, 0, v49, vcc
	v_cmp_lt_u64_e32 vcc, v[14:15], v[0:1]
	v_mov_b32_e32 v23, 0
	s_or_b64 s[48:49], s[48:49], exec
	s_and_saveexec_b64 s[50:51], vcc
	s_cbranch_execz .LBB0_71
; %bb.73:                               ;   in Loop: Header=BB0_72 Depth=2
	s_sleep 1
	flat_load_dwordx2 v[48:49], v[38:39] glc
	v_add_u32_e32 v9, 1, v9
	v_cmp_eq_u32_e32 vcc, s58, v9
	s_mov_b64 s[54:55], -1
	v_mov_b32_e32 v23, 0
	s_and_saveexec_b64 s[52:53], vcc
	s_cbranch_execz .LBB0_70
; %bb.74:                               ;   in Loop: Header=BB0_72 Depth=2
	s_trap 2
	ds_read_b64 v[14:15], v0
	v_mov_b32_e32 v9, 0
	v_mov_b32_e32 v23, 0
	s_waitcnt vmcnt(0) lgkmcnt(0)
	flat_load_dword v13, v[14:15] glc
	s_waitcnt vmcnt(0) lgkmcnt(0)
	buffer_invl2
	buffer_wbinvl1_vol
	v_cmp_ne_u32_e32 vcc, 0, v13
	s_and_saveexec_b64 s[56:57], vcc
	s_cbranch_execz .LBB0_69
; %bb.75:                               ;   in Loop: Header=BB0_72 Depth=2
	v_mov_b32_e32 v23, 1
	s_xor_b64 s[54:55], exec, -1
	ds_write_b32 v0, v13
	s_trap 2
	s_branch .LBB0_69
.LBB0_76:                               ;   in Loop: Header=BB0_63 Depth=1
	s_or_b64 exec, exec, s[46:47]
.LBB0_77:                               ;   in Loop: Header=BB0_63 Depth=1
	s_or_b64 exec, exec, s[44:45]
.LBB0_78:                               ;   in Loop: Header=BB0_63 Depth=1
	s_or_b64 exec, exec, s[42:43]
	s_and_saveexec_b64 s[42:43], s[12:13]
	s_cbranch_execz .LBB0_80
; %bb.79:                               ;   in Loop: Header=BB0_63 Depth=1
	v_add_u32_e32 v9, 7, v10
	v_ashrrev_i32_e32 v13, 31, v9
	v_lshrrev_b32_e32 v13, 29, v13
	v_add_u32_e32 v9, v9, v13
	v_and_b32_e32 v52, 0x7ffffff8, v8
	v_lshrrev_b32_e32 v9, 3, v9
	v_cmp_eq_u64_e32 vcc, s[36:37], v[52:53]
	v_cndmask_b32_e32 v9, v9, v62, vcc
	v_lshlrev_b32_e32 v14, 4, v9
	v_and_b32_e32 v8, 7, v8
	v_ashrrev_i32_e32 v15, 31, v14
	v_mad_u64_u32 v[8:9], vcc, v8, 24, v[6:7]
	flat_store_dwordx2 v[8:9], v[14:15] offset:8
	s_waitcnt vmcnt(0)
.LBB0_80:                               ;   in Loop: Header=BB0_63 Depth=1
	s_or_b64 exec, exec, s[42:43]
	v_pk_mov_b32 v[8:9], v[0:1], v[0:1] op_sel:[0,1]
.LBB0_81:                               ;   in Loop: Header=BB0_63 Depth=1
	s_or_b64 exec, exec, s[20:21]
	s_and_saveexec_b64 s[20:21], s[14:15]
	s_cbranch_execz .LBB0_100
; %bb.82:                               ;   in Loop: Header=BB0_63 Depth=1
	s_and_saveexec_b64 vcc, s[30:31]
	s_xor_b64 s[42:43], exec, vcc
	s_cbranch_execz .LBB0_97
; %bb.83:                               ;   in Loop: Header=BB0_63 Depth=1
	s_and_saveexec_b64 s[44:45], s[16:17]
	s_cbranch_execz .LBB0_96
; %bb.84:                               ;   in Loop: Header=BB0_63 Depth=1
	s_mov_b64 s[48:49], exec
	v_mbcnt_lo_u32_b32 v0, s48, 0
	v_mbcnt_hi_u32_b32 v0, s49, v0
	v_cmp_eq_u32_e32 vcc, 0, v0
	s_waitcnt vmcnt(0) lgkmcnt(0)
	buffer_wbinvl1_vol
	s_and_saveexec_b64 s[46:47], vcc
	s_cbranch_execz .LBB0_86
; %bb.85:                               ;   in Loop: Header=BB0_63 Depth=1
	s_bcnt1_i32_b64 vcc_lo, s[48:49]
	v_mov_b32_e32 v52, vcc_lo
	ds_add_u64 v0, v[52:53]
	s_trap 2
.LBB0_86:                               ;   in Loop: Header=BB0_63 Depth=1
	s_or_b64 exec, exec, s[46:47]
	s_trap 2
	ds_read_b64 v[0:1], v0
	v_accvgpr_read_b32 v14, a16
	v_add_co_u32_e32 v40, vcc, v40, v14
	v_accvgpr_read_b32 v13, a17
	v_addc_co_u32_e32 v41, vcc, v41, v13, vcc
	s_waitcnt lgkmcnt(0)
	v_cmp_lt_u64_e32 vcc, v[0:1], v[40:41]
	s_and_saveexec_b64 s[46:47], vcc
	s_cbranch_execz .LBB0_95
; %bb.87:                               ;   in Loop: Header=BB0_63 Depth=1
	s_mov_b32 s59, 0
	s_mov_b64 s[48:49], 0
                                        ; implicit-def: $sgpr50_sgpr51
                                        ; implicit-def: $sgpr52_sgpr53
	s_branch .LBB0_89
.LBB0_88:                               ;   in Loop: Header=BB0_89 Depth=2
	s_or_b64 exec, exec, s[56:57]
	s_and_b64 vcc, exec, vcc
	s_or_b64 s[48:49], vcc, s[48:49]
	s_andn2_b64 vcc, s[50:51], exec
	s_and_b64 s[50:51], s[52:53], exec
	s_or_b64 s[50:51], vcc, s[50:51]
	s_andn2_b64 exec, exec, s[48:49]
	s_cbranch_execz .LBB0_93
.LBB0_89:                               ;   Parent Loop BB0_63 Depth=1
                                        ; =>  This Inner Loop Header: Depth=2
	s_add_i32 s59, s59, 1
	s_cmpk_lg_i32 s59, 0x2710
	s_cselect_b64 s[54:55], -1, 0
	s_and_b64 vcc, exec, s[54:55]
                                        ; implicit-def: $sgpr56_sgpr57
	s_cbranch_vccnz .LBB0_91
; %bb.90:                               ;   in Loop: Header=BB0_89 Depth=2
	s_trap 2
	ds_read_b64 v[0:1], v0
	s_andn2_b64 s[54:55], s[54:55], exec
	s_mov_b32 s59, 0
	s_mov_b64 s[56:57], -1
	s_waitcnt lgkmcnt(0)
	flat_load_dword v0, v[0:1] glc
	s_waitcnt vmcnt(0) lgkmcnt(0)
	buffer_invl2
	buffer_wbinvl1_vol
	v_cmp_eq_u32_e32 vcc, 0, v0
	s_and_b64 vcc, vcc, exec
	s_or_b64 s[54:55], s[54:55], vcc
.LBB0_91:                               ;   in Loop: Header=BB0_89 Depth=2
	s_andn2_b64 s[52:53], s[52:53], exec
	s_and_b64 s[56:57], s[56:57], exec
	s_mov_b64 vcc, -1
	s_or_b64 s[52:53], s[52:53], s[56:57]
	s_and_saveexec_b64 s[56:57], s[54:55]
	s_cbranch_execz .LBB0_88
; %bb.92:                               ;   in Loop: Header=BB0_89 Depth=2
	s_sleep 1
	s_trap 2
	ds_read_b64 v[0:1], v0
	s_andn2_b64 s[52:53], s[52:53], exec
	s_waitcnt lgkmcnt(0)
	v_cmp_ge_u64_e32 vcc, v[0:1], v[40:41]
	s_orn2_b64 vcc, vcc, exec
	s_branch .LBB0_88
.LBB0_93:                               ;   in Loop: Header=BB0_63 Depth=1
	s_or_b64 exec, exec, s[48:49]
	s_and_saveexec_b64 vcc, s[50:51]
	s_xor_b64 vcc, exec, vcc
	s_cbranch_execz .LBB0_95
; %bb.94:                               ;   in Loop: Header=BB0_63 Depth=1
	v_mov_b32_e32 v0, 1
	ds_write_b32 v0, v0
	s_trap 2
.LBB0_95:                               ;   in Loop: Header=BB0_63 Depth=1
	s_or_b64 exec, exec, s[46:47]
	;;#ASMSTART
	s_wakeup
	;;#ASMEND
.LBB0_96:                               ;   in Loop: Header=BB0_63 Depth=1
	s_or_b64 exec, exec, s[44:45]
.LBB0_97:                               ;   in Loop: Header=BB0_63 Depth=1
	s_andn2_saveexec_b64 vcc, s[42:43]
	s_cbranch_execz .LBB0_99
; %bb.98:                               ;   in Loop: Header=BB0_63 Depth=1
	s_waitcnt vmcnt(0) lgkmcnt(0)
	buffer_wbinvl1_vol
	s_barrier
.LBB0_99:                               ;   in Loop: Header=BB0_63 Depth=1
	s_or_b64 exec, exec, vcc
.LBB0_100:                              ;   in Loop: Header=BB0_63 Depth=1
	s_or_b64 exec, exec, s[20:21]
	v_sub_u32_e32 v52, v10, v42
	v_cmp_lt_i32_e32 vcc, 0, v52
	v_mov_b32_e32 v0, v22
	s_and_saveexec_b64 s[42:43], vcc
	s_cbranch_execnz .LBB0_128
; %bb.101:                              ;   in Loop: Header=BB0_63 Depth=1
	s_or_b64 exec, exec, s[42:43]
	s_and_saveexec_b64 s[20:21], s[14:15]
	s_cbranch_execnz .LBB0_193
.LBB0_102:                              ;   in Loop: Header=BB0_63 Depth=1
	s_or_b64 exec, exec, s[20:21]
	s_and_saveexec_b64 s[20:21], s[18:19]
	s_cbranch_execz .LBB0_104
.LBB0_103:                              ;   in Loop: Header=BB0_63 Depth=1
	v_add_co_u32_e32 v34, vcc, 1, v34
	v_accvgpr_read_b32 v10, a12
	v_addc_co_u32_e32 v35, vcc, 0, v35, vcc
	v_accvgpr_read_b32 v11, a13
	flat_store_dwordx2 v[10:11], v[34:35]
.LBB0_104:                              ;   in Loop: Header=BB0_63 Depth=1
	s_or_b64 exec, exec, s[20:21]
	v_and_b32_e32 v52, 0x7ffffff8, v32
	v_cmp_eq_u64_e32 vcc, s[36:37], v[52:53]
	v_cmp_gt_i32_e64 s[20:21], v62, v0
	s_and_b64 s[20:21], vcc, s[20:21]
	s_and_saveexec_b64 s[42:43], s[20:21]
	s_cbranch_execz .LBB0_107
; %bb.105:                              ;   in Loop: Header=BB0_63 Depth=1
	v_and_b32_e32 v1, 7, v32
	v_mul_lo_u32 v12, v1, v62
	v_mov_b32_e32 v1, v32
	v_add_co_u32_e64 v10, vcc, 0, 0
	v_ashrrev_i32_e32 v13, 31, v12
	v_addc_co_u32_e32 v11, vcc, 1, v1, vcc
	v_ashrrev_i32_e32 v1, 31, v0
	v_lshlrev_b64 v[14:15], 4, v[0:1]
	v_lshlrev_b64 v[12:13], 4, v[12:13]
	v_add_co_u32_e32 v1, vcc, v14, v12
	v_addc_co_u32_e32 v12, vcc, v15, v13, vcc
	v_accvgpr_read_b32 v15, a11
	v_accvgpr_read_b32 v14, a10
	v_add_co_u32_e32 v14, vcc, v14, v1
	v_addc_co_u32_e32 v15, vcc, v15, v12, vcc
	s_mov_b64 s[44:45], 0
.LBB0_106:                              ;   Parent Loop BB0_63 Depth=1
                                        ; =>  This Inner Loop Header: Depth=2
	v_mov_b32_e32 v12, v10
	v_mov_b32_e32 v13, v11
	v_add_u32_e32 v0, v0, v2
	global_store_dwordx4 v[14:15], v[10:13], off
	v_cmp_ge_i32_e32 vcc, v0, v62
	v_add_co_u32_e64 v14, s[20:21], v14, v46
	s_or_b64 s[44:45], vcc, s[44:45]
	v_addc_co_u32_e64 v15, vcc, v15, v47, s[20:21]
	s_andn2_b64 exec, exec, s[44:45]
	s_cbranch_execnz .LBB0_106
.LBB0_107:                              ;   in Loop: Header=BB0_63 Depth=1
	s_or_b64 exec, exec, s[42:43]
	v_add_co_u32_e32 v26, vcc, 1, v26
	v_addc_co_u32_e32 v27, vcc, 0, v27, vcc
	v_add_co_u32_e32 v32, vcc, 1, v32
	v_addc_co_u32_e32 v33, vcc, 0, v33, vcc
                                        ; implicit-def: $vgpr10
                                        ; implicit-def: $vgpr11
                                        ; implicit-def: $vgpr12
.LBB0_108:                              ;   in Loop: Header=BB0_63 Depth=1
	s_andn2_saveexec_b64 s[40:41], s[40:41]
	s_cbranch_execz .LBB0_120
; %bb.109:                              ;   in Loop: Header=BB0_63 Depth=1
	v_sub_u32_e32 v20, v10, v42
	v_cmp_lt_i32_e32 vcc, 0, v20
	s_and_saveexec_b64 s[42:43], vcc
	s_cbranch_execnz .LBB0_160
; %bb.110:                              ;   in Loop: Header=BB0_63 Depth=1
	s_or_b64 exec, exec, s[42:43]
	s_and_saveexec_b64 s[20:21], s[14:15]
	s_cbranch_execnz .LBB0_205
.LBB0_111:                              ;   in Loop: Header=BB0_63 Depth=1
	s_or_b64 exec, exec, s[20:21]
	s_and_saveexec_b64 s[20:21], s[18:19]
	s_cbranch_execz .LBB0_113
.LBB0_112:                              ;   in Loop: Header=BB0_63 Depth=1
	v_add_co_u32_e32 v34, vcc, 1, v34
	v_accvgpr_read_b32 v0, a12
	v_addc_co_u32_e32 v35, vcc, 0, v35, vcc
	v_accvgpr_read_b32 v1, a13
	flat_store_dwordx2 v[0:1], v[34:35]
.LBB0_113:                              ;   in Loop: Header=BB0_63 Depth=1
	s_or_b64 exec, exec, s[20:21]
	v_add_co_u32_e32 v26, vcc, 1, v26
	v_addc_co_u32_e32 v27, vcc, 0, v27, vcc
	s_or_b64 exec, exec, s[40:41]
                                        ; implicit-def: $vgpr10
.LBB0_114:                              ;   in Loop: Header=BB0_63 Depth=1
	s_andn2_saveexec_b64 s[38:39], s[38:39]
	s_cbranch_execz .LBB0_62
.LBB0_115:                              ;   in Loop: Header=BB0_63 Depth=1
	v_add_u32_e32 v0, 7, v10
	v_ashrrev_i32_e32 v1, 31, v0
	v_lshrrev_b32_e32 v1, 29, v1
	v_add_u32_e32 v0, v0, v1
	v_ashrrev_i32_e32 v11, 3, v0
	s_and_saveexec_b64 s[20:21], s[34:35]
	s_xor_b64 s[40:41], exec, s[20:21]
	s_cbranch_execz .LBB0_284
; %bb.116:                              ;   in Loop: Header=BB0_63 Depth=1
	s_and_saveexec_b64 s[20:21], s[10:11]
	s_cbranch_execz .LBB0_221
; %bb.117:                              ;   in Loop: Header=BB0_63 Depth=1
	v_add_co_u32_e32 v0, vcc, 1, v8
	v_addc_co_u32_e32 v1, vcc, 0, v9, vcc
	s_waitcnt vmcnt(0) lgkmcnt(0)
	v_add_co_u32_e32 v12, vcc, 8, v48
	v_addc_co_u32_e32 v13, vcc, 0, v49, vcc
	v_cmp_lt_u64_e32 vcc, v[12:13], v[0:1]
	s_and_saveexec_b64 s[42:43], vcc
	s_cbranch_execz .LBB0_218
; %bb.118:                              ;   in Loop: Header=BB0_63 Depth=1
	s_sleep 1
	flat_load_dwordx2 v[48:49], v[38:39] glc
	v_cmp_eq_u32_e32 vcc, 0, v23
	s_and_saveexec_b64 s[44:45], vcc
	s_cbranch_execz .LBB0_217
; %bb.119:                              ;   in Loop: Header=BB0_63 Depth=1
	v_cndmask_b32_e64 v9, 0, 1, vcc
	s_mov_b64 s[46:47], 0
                                        ; implicit-def: $sgpr48_sgpr49
	s_branch .LBB0_124
.LBB0_120:                              ;   in Loop: Header=BB0_63 Depth=1
	s_or_b64 exec, exec, s[40:41]
                                        ; implicit-def: $vgpr10
	s_andn2_saveexec_b64 s[38:39], s[38:39]
	s_cbranch_execz .LBB0_62
	s_branch .LBB0_115
.LBB0_121:                              ;   in Loop: Header=BB0_124 Depth=2
	s_or_b64 exec, exec, s[56:57]
	s_orn2_b64 s[54:55], s[54:55], exec
.LBB0_122:                              ;   in Loop: Header=BB0_124 Depth=2
	s_or_b64 exec, exec, s[52:53]
	s_xor_b64 vcc, s[54:55], -1
	s_andn2_b64 s[48:49], s[48:49], exec
	s_and_b64 vcc, vcc, exec
	s_or_b64 s[48:49], s[48:49], vcc
.LBB0_123:                              ;   in Loop: Header=BB0_124 Depth=2
	s_or_b64 exec, exec, s[50:51]
	s_and_b64 vcc, exec, s[48:49]
	s_or_b64 s[46:47], vcc, s[46:47]
	s_andn2_b64 exec, exec, s[46:47]
	s_cbranch_execz .LBB0_216
.LBB0_124:                              ;   Parent Loop BB0_63 Depth=1
                                        ; =>  This Inner Loop Header: Depth=2
	s_waitcnt vmcnt(0) lgkmcnt(0)
	v_add_co_u32_e32 v12, vcc, 8, v48
	v_addc_co_u32_e32 v13, vcc, 0, v49, vcc
	v_cmp_lt_u64_e32 vcc, v[12:13], v[0:1]
	v_mov_b32_e32 v23, 0
	s_or_b64 s[48:49], s[48:49], exec
	s_and_saveexec_b64 s[50:51], vcc
	s_cbranch_execz .LBB0_123
; %bb.125:                              ;   in Loop: Header=BB0_124 Depth=2
	s_sleep 1
	flat_load_dwordx2 v[48:49], v[38:39] glc
	v_add_u32_e32 v9, 1, v9
	v_cmp_eq_u32_e32 vcc, s58, v9
	s_mov_b64 s[54:55], -1
	v_mov_b32_e32 v23, 0
	s_and_saveexec_b64 s[52:53], vcc
	s_cbranch_execz .LBB0_122
; %bb.126:                              ;   in Loop: Header=BB0_124 Depth=2
	s_trap 2
	ds_read_b64 v[12:13], v0
	v_mov_b32_e32 v9, 0
	v_mov_b32_e32 v23, 0
	s_waitcnt vmcnt(0) lgkmcnt(0)
	flat_load_dword v12, v[12:13] glc
	s_waitcnt vmcnt(0) lgkmcnt(0)
	buffer_invl2
	buffer_wbinvl1_vol
	v_cmp_ne_u32_e32 vcc, 0, v12
	s_and_saveexec_b64 s[56:57], vcc
	s_cbranch_execz .LBB0_121
; %bb.127:                              ;   in Loop: Header=BB0_124 Depth=2
	v_mov_b32_e32 v23, 1
	s_xor_b64 s[54:55], exec, -1
	ds_write_b32 v0, v12
	s_trap 2
	s_branch .LBB0_121
.LBB0_128:                              ;   in Loop: Header=BB0_63 Depth=1
	v_accvgpr_read_b32 v0, a18
	v_add_co_u32_e32 v20, vcc, v0, v11
	v_accvgpr_read_b32 v0, a19
	v_addc_co_u32_e32 v21, vcc, v0, v12, vcc
	v_and_b32_e32 v0, 7, v26
	v_mul_lo_u32 v0, v0, v62
	v_ashrrev_i32_e32 v1, 31, v0
	v_accvgpr_read_b32 v11, a9
	v_lshlrev_b64 v[0:1], 4, v[0:1]
	v_accvgpr_read_b32 v10, a8
	v_add_co_u32_e32 v54, vcc, v10, v0
	v_and_b32_e32 v0, 7, v32
	v_mul_lo_u32 v0, v0, v62
	v_addc_co_u32_e32 v55, vcc, v11, v1, vcc
	v_ashrrev_i32_e32 v1, 31, v0
	v_lshlrev_b64 v[0:1], 4, v[0:1]
	v_accvgpr_read_b32 v10, a10
	v_accvgpr_read_b32 v11, a11
	v_add_co_u32_e32 v31, vcc, v10, v0
	v_addc_co_u32_e32 v28, vcc, v11, v1, vcc
	v_mov_b32_e32 v1, v32
	v_add_co_u32_e64 v29, vcc, 0, 0
	v_add_u32_e32 v25, 1, v26
	v_addc_co_u32_e32 v11, vcc, 1, v1, vcc
	s_mov_b64 s[44:45], 0
	v_mov_b32_e32 v0, v22
	s_branch .LBB0_130
.LBB0_129:                              ;   in Loop: Header=BB0_130 Depth=2
	v_add_co_u32_e32 v20, vcc, v20, v44
	v_addc_co_u32_e32 v21, vcc, v21, v45, vcc
	v_sub_u32_e32 v52, v52, v44
	v_cmp_gt_i32_e32 vcc, 1, v52
	s_or_b64 s[44:45], vcc, s[44:45]
	v_add_u32_e32 v0, v0, v2
	s_andn2_b64 exec, exec, s[44:45]
	s_cbranch_execz .LBB0_192
.LBB0_130:                              ;   Parent Loop BB0_63 Depth=1
                                        ; =>  This Loop Header: Depth=2
                                        ;       Child Loop BB0_134 Depth 3
	v_ashrrev_i32_e32 v1, 31, v0
	v_lshlrev_b64 v[12:13], 4, v[0:1]
	v_add_co_u32_e32 v36, vcc, v54, v12
	v_addc_co_u32_e32 v37, vcc, v55, v13, vcc
	global_load_dwordx4 v[14:17], v[36:37], off glc slc
	v_cmp_eq_u32_e32 vcc, 0, v23
	s_and_saveexec_b64 s[46:47], vcc
	s_cbranch_execz .LBB0_142
; %bb.131:                              ;   in Loop: Header=BB0_130 Depth=2
	s_waitcnt vmcnt(0)
	v_cmp_ne_u32_e32 vcc, v25, v15
	v_cmp_ne_u32_e64 s[20:21], v25, v17
	s_or_b64 s[20:21], vcc, s[20:21]
	v_mov_b32_e32 v23, 0
	s_and_saveexec_b64 s[48:49], s[20:21]
	s_cbranch_execz .LBB0_141
; %bb.132:                              ;   in Loop: Header=BB0_130 Depth=2
	s_mov_b32 s54, 1
	s_mov_b64 s[50:51], 0
	v_mov_b32_e32 v23, 0
	s_branch .LBB0_134
.LBB0_133:                              ;   in Loop: Header=BB0_134 Depth=3
	s_or_b64 exec, exec, s[52:53]
	s_and_b64 s[20:21], exec, s[20:21]
	s_or_b64 s[50:51], s[20:21], s[50:51]
	s_andn2_b64 exec, exec, s[50:51]
	s_cbranch_execz .LBB0_140
.LBB0_134:                              ;   Parent Loop BB0_63 Depth=1
                                        ;     Parent Loop BB0_130 Depth=2
                                        ; =>    This Inner Loop Header: Depth=3
	global_load_dwordx4 v[14:17], v[36:37], off glc slc
	s_add_i32 s54, s54, 1
	s_cmpk_lg_i32 s54, 0x2710
	s_cbranch_scc1 .LBB0_138
; %bb.135:                              ;   in Loop: Header=BB0_134 Depth=3
	s_trap 2
	ds_read_b64 v[18:19], v0
	s_waitcnt vmcnt(0) lgkmcnt(0)
	flat_load_dword v1, v[18:19] glc
	s_waitcnt vmcnt(0) lgkmcnt(0)
	buffer_invl2
	buffer_wbinvl1_vol
	v_cmp_ne_u32_e32 vcc, 0, v1
	s_and_saveexec_b64 s[20:21], vcc
	s_cbranch_execz .LBB0_137
; %bb.136:                              ;   in Loop: Header=BB0_134 Depth=3
	v_mov_b32_e32 v23, 1
	ds_write_b32 v0, v1
	s_trap 2
.LBB0_137:                              ;   in Loop: Header=BB0_134 Depth=3
	s_or_b64 exec, exec, s[20:21]
	s_mov_b32 s54, 0
	v_mov_b32_e32 v1, v23
	v_cmp_eq_u32_e32 vcc, 0, v1
	s_mov_b64 s[20:21], -1
	s_and_saveexec_b64 s[52:53], vcc
	s_cbranch_execz .LBB0_133
	s_branch .LBB0_139
.LBB0_138:                              ;   in Loop: Header=BB0_134 Depth=3
	v_mov_b32_e32 v1, 0
	v_cmp_eq_u32_e32 vcc, 0, v1
	s_mov_b64 s[20:21], -1
	s_and_saveexec_b64 s[52:53], vcc
	s_cbranch_execz .LBB0_133
.LBB0_139:                              ;   in Loop: Header=BB0_134 Depth=3
	s_waitcnt vmcnt(0)
	v_cmp_eq_u32_e32 vcc, v25, v15
	v_cmp_eq_u32_e64 s[20:21], v25, v17
	s_and_b64 s[20:21], vcc, s[20:21]
	s_orn2_b64 s[20:21], s[20:21], exec
	s_branch .LBB0_133
.LBB0_140:                              ;   in Loop: Header=BB0_130 Depth=2
	s_or_b64 exec, exec, s[50:51]
.LBB0_141:                              ;   in Loop: Header=BB0_130 Depth=2
	s_or_b64 exec, exec, s[48:49]
.LBB0_142:                              ;   in Loop: Header=BB0_130 Depth=2
	s_or_b64 exec, exec, s[46:47]
	v_add_co_u32_e32 v18, vcc, v31, v12
	v_addc_co_u32_e32 v19, vcc, v28, v13, vcc
	s_waitcnt vmcnt(0)
	v_or_b32_e32 v10, v14, v29
	v_or_b32_e32 v12, v16, v29
	v_mov_b32_e32 v13, v11
	v_cmp_lt_u32_e32 vcc, 7, v52
	global_store_dwordx4 v[18:19], v[10:13], off
	v_mov_b32_e32 v1, v16
	v_cndmask_b32_e64 v10, 0, 1, vcc
	;;#ASMSTART
	;;#ASMEND
	v_cmp_ne_u32_e64 s[20:21], 0, v10
	s_cmp_lg_u64 s[20:21], exec
	s_mov_b64 s[20:21], -1
	s_cbranch_scc0 .LBB0_152
; %bb.143:                              ;   in Loop: Header=BB0_130 Depth=2
	v_cmp_ne_u32_e64 s[20:21], 1, v52
	flat_store_byte v[20:21], v14
	s_and_saveexec_b64 s[46:47], s[20:21]
	s_cbranch_execnz .LBB0_154
; %bb.144:                              ;   in Loop: Header=BB0_130 Depth=2
	s_or_b64 exec, exec, s[46:47]
	v_cmp_lt_u32_e64 s[20:21], 2, v52
	s_and_saveexec_b64 s[46:47], s[20:21]
	s_cbranch_execnz .LBB0_155
.LBB0_145:                              ;   in Loop: Header=BB0_130 Depth=2
	s_or_b64 exec, exec, s[46:47]
	v_cmp_lt_u32_e64 s[20:21], 3, v52
	s_and_saveexec_b64 s[46:47], s[20:21]
	s_cbranch_execnz .LBB0_156
.LBB0_146:                              ;   in Loop: Header=BB0_130 Depth=2
	s_or_b64 exec, exec, s[46:47]
	v_cmp_lt_u32_e64 s[20:21], 4, v52
	s_and_saveexec_b64 s[46:47], s[20:21]
	s_cbranch_execnz .LBB0_157
.LBB0_147:                              ;   in Loop: Header=BB0_130 Depth=2
	s_or_b64 exec, exec, s[46:47]
	v_cmp_lt_u32_e64 s[20:21], 5, v52
	s_and_saveexec_b64 s[46:47], s[20:21]
	s_cbranch_execnz .LBB0_158
.LBB0_148:                              ;   in Loop: Header=BB0_130 Depth=2
	s_or_b64 exec, exec, s[46:47]
	v_cmp_lt_u32_e64 s[20:21], 6, v52
	s_and_saveexec_b64 s[46:47], s[20:21]
	s_cbranch_execnz .LBB0_159
.LBB0_149:                              ;   in Loop: Header=BB0_130 Depth=2
	s_or_b64 exec, exec, s[46:47]
	s_and_saveexec_b64 s[20:21], vcc
	s_cbranch_execz .LBB0_151
.LBB0_150:                              ;   in Loop: Header=BB0_130 Depth=2
	v_lshrrev_b32_e32 v10, 24, v1
	flat_store_byte v[20:21], v10 offset:7
.LBB0_151:                              ;   in Loop: Header=BB0_130 Depth=2
	s_or_b64 exec, exec, s[20:21]
	s_mov_b64 s[20:21], 0
.LBB0_152:                              ;   in Loop: Header=BB0_130 Depth=2
	s_and_b64 vcc, exec, s[20:21]
	s_cbranch_vccz .LBB0_129
; %bb.153:                              ;   in Loop: Header=BB0_130 Depth=2
	v_or_b32_e32 v15, 0, v1
	global_store_dwordx2 v[20:21], v[14:15], off
	s_branch .LBB0_129
.LBB0_154:                              ;   in Loop: Header=BB0_130 Depth=2
	v_lshrrev_b32_e32 v10, 8, v14
	flat_store_byte v[20:21], v10 offset:1
	s_or_b64 exec, exec, s[46:47]
	v_cmp_lt_u32_e64 s[20:21], 2, v52
	s_and_saveexec_b64 s[46:47], s[20:21]
	s_cbranch_execz .LBB0_145
.LBB0_155:                              ;   in Loop: Header=BB0_130 Depth=2
	flat_store_byte_d16_hi v[20:21], v14 offset:2
	s_or_b64 exec, exec, s[46:47]
	v_cmp_lt_u32_e64 s[20:21], 3, v52
	s_and_saveexec_b64 s[46:47], s[20:21]
	s_cbranch_execz .LBB0_146
.LBB0_156:                              ;   in Loop: Header=BB0_130 Depth=2
	v_lshrrev_b32_e32 v10, 24, v14
	flat_store_byte v[20:21], v10 offset:3
	s_or_b64 exec, exec, s[46:47]
	v_cmp_lt_u32_e64 s[20:21], 4, v52
	s_and_saveexec_b64 s[46:47], s[20:21]
	s_cbranch_execz .LBB0_147
.LBB0_157:                              ;   in Loop: Header=BB0_130 Depth=2
	flat_store_byte v[20:21], v16 offset:4
	s_or_b64 exec, exec, s[46:47]
	v_cmp_lt_u32_e64 s[20:21], 5, v52
	s_and_saveexec_b64 s[46:47], s[20:21]
	s_cbranch_execz .LBB0_148
.LBB0_158:                              ;   in Loop: Header=BB0_130 Depth=2
	v_lshrrev_b32_e32 v10, 8, v1
	flat_store_byte v[20:21], v10 offset:5
	s_or_b64 exec, exec, s[46:47]
	v_cmp_lt_u32_e64 s[20:21], 6, v52
	s_and_saveexec_b64 s[46:47], s[20:21]
	s_cbranch_execz .LBB0_149
.LBB0_159:                              ;   in Loop: Header=BB0_130 Depth=2
	flat_store_byte_d16_hi v[20:21], v1 offset:6
	s_or_b64 exec, exec, s[46:47]
	s_and_saveexec_b64 s[20:21], vcc
	s_cbranch_execnz .LBB0_150
	s_branch .LBB0_151
.LBB0_160:                              ;   in Loop: Header=BB0_63 Depth=1
	v_accvgpr_read_b32 v0, a18
	v_and_b32_e32 v10, 7, v26
	v_add_co_u32_e32 v0, vcc, v0, v11
	v_accvgpr_read_b32 v1, a19
	v_mul_lo_u32 v10, v10, v62
	v_addc_co_u32_e32 v1, vcc, v1, v12, vcc
	v_ashrrev_i32_e32 v11, 31, v10
	v_accvgpr_read_b32 v13, a9
	v_lshlrev_b64 v[10:11], 4, v[10:11]
	v_accvgpr_read_b32 v12, a8
	v_add_co_u32_e32 v21, vcc, v12, v10
	v_addc_co_u32_e32 v25, vcc, v13, v11, vcc
	v_add_u32_e32 v28, 1, v26
	s_mov_b64 s[44:45], 0
	v_mov_b32_e32 v14, v22
	s_branch .LBB0_162
.LBB0_161:                              ;   in Loop: Header=BB0_162 Depth=2
	v_add_co_u32_e32 v0, vcc, v0, v44
	v_addc_co_u32_e32 v1, vcc, v1, v45, vcc
	v_sub_u32_e32 v20, v20, v44
	v_cmp_gt_i32_e32 vcc, 1, v20
	s_or_b64 s[44:45], vcc, s[44:45]
	v_add_u32_e32 v14, v14, v2
	s_andn2_b64 exec, exec, s[44:45]
	s_cbranch_execz .LBB0_204
.LBB0_162:                              ;   Parent Loop BB0_63 Depth=1
                                        ; =>  This Loop Header: Depth=2
                                        ;       Child Loop BB0_166 Depth 3
	v_ashrrev_i32_e32 v15, 31, v14
	v_lshlrev_b64 v[10:11], 4, v[14:15]
	v_add_co_u32_e32 v16, vcc, v21, v10
	v_addc_co_u32_e32 v17, vcc, v25, v11, vcc
	global_load_dwordx4 v[10:13], v[16:17], off glc slc
	v_cmp_eq_u32_e32 vcc, 0, v23
	s_and_saveexec_b64 s[46:47], vcc
	s_cbranch_execz .LBB0_174
; %bb.163:                              ;   in Loop: Header=BB0_162 Depth=2
	s_waitcnt vmcnt(0)
	v_cmp_ne_u32_e32 vcc, v28, v11
	v_cmp_ne_u32_e64 s[20:21], v28, v13
	s_or_b64 s[20:21], vcc, s[20:21]
	v_mov_b32_e32 v23, 0
	s_and_saveexec_b64 s[48:49], s[20:21]
	s_cbranch_execz .LBB0_173
; %bb.164:                              ;   in Loop: Header=BB0_162 Depth=2
	s_mov_b32 s54, 1
	s_mov_b64 s[50:51], 0
	v_mov_b32_e32 v23, 0
	s_branch .LBB0_166
.LBB0_165:                              ;   in Loop: Header=BB0_166 Depth=3
	s_or_b64 exec, exec, s[52:53]
	s_and_b64 s[20:21], exec, s[20:21]
	s_or_b64 s[50:51], s[20:21], s[50:51]
	s_andn2_b64 exec, exec, s[50:51]
	s_cbranch_execz .LBB0_172
.LBB0_166:                              ;   Parent Loop BB0_63 Depth=1
                                        ;     Parent Loop BB0_162 Depth=2
                                        ; =>    This Inner Loop Header: Depth=3
	global_load_dwordx4 v[10:13], v[16:17], off glc slc
	s_add_i32 s54, s54, 1
	s_cmpk_lg_i32 s54, 0x2710
	s_cbranch_scc1 .LBB0_170
; %bb.167:                              ;   in Loop: Header=BB0_166 Depth=3
	s_trap 2
	ds_read_b64 v[36:37], v0
	s_waitcnt vmcnt(0) lgkmcnt(0)
	flat_load_dword v15, v[36:37] glc
	s_waitcnt vmcnt(0) lgkmcnt(0)
	buffer_invl2
	buffer_wbinvl1_vol
	v_cmp_ne_u32_e32 vcc, 0, v15
	s_and_saveexec_b64 s[20:21], vcc
	s_cbranch_execz .LBB0_169
; %bb.168:                              ;   in Loop: Header=BB0_166 Depth=3
	v_mov_b32_e32 v23, 1
	ds_write_b32 v0, v15
	s_trap 2
.LBB0_169:                              ;   in Loop: Header=BB0_166 Depth=3
	s_or_b64 exec, exec, s[20:21]
	s_mov_b32 s54, 0
	v_mov_b32_e32 v15, v23
	v_cmp_eq_u32_e32 vcc, 0, v15
	s_mov_b64 s[20:21], -1
	s_and_saveexec_b64 s[52:53], vcc
	s_cbranch_execz .LBB0_165
	s_branch .LBB0_171
.LBB0_170:                              ;   in Loop: Header=BB0_166 Depth=3
	v_mov_b32_e32 v15, 0
	v_cmp_eq_u32_e32 vcc, 0, v15
	s_mov_b64 s[20:21], -1
	s_and_saveexec_b64 s[52:53], vcc
	s_cbranch_execz .LBB0_165
.LBB0_171:                              ;   in Loop: Header=BB0_166 Depth=3
	s_waitcnt vmcnt(0)
	v_cmp_eq_u32_e32 vcc, v28, v11
	v_cmp_eq_u32_e64 s[20:21], v28, v13
	s_and_b64 s[20:21], vcc, s[20:21]
	s_orn2_b64 s[20:21], s[20:21], exec
	s_branch .LBB0_165
.LBB0_172:                              ;   in Loop: Header=BB0_162 Depth=2
	s_or_b64 exec, exec, s[50:51]
.LBB0_173:                              ;   in Loop: Header=BB0_162 Depth=2
	s_or_b64 exec, exec, s[48:49]
.LBB0_174:                              ;   in Loop: Header=BB0_162 Depth=2
	s_or_b64 exec, exec, s[46:47]
	v_cmp_lt_u32_e32 vcc, 7, v20
	s_waitcnt vmcnt(0)
	v_cndmask_b32_e64 v13, 0, 1, vcc
	;;#ASMSTART
	;;#ASMEND
	v_cmp_ne_u32_e64 s[20:21], 0, v13
	v_mov_b32_e32 v11, v12
	s_cmp_lg_u64 s[20:21], exec
	s_mov_b64 s[20:21], -1
	s_cbranch_scc0 .LBB0_184
; %bb.175:                              ;   in Loop: Header=BB0_162 Depth=2
	v_cmp_ne_u32_e64 s[20:21], 1, v20
	flat_store_byte v[0:1], v10
	s_and_saveexec_b64 s[46:47], s[20:21]
	s_cbranch_execnz .LBB0_186
; %bb.176:                              ;   in Loop: Header=BB0_162 Depth=2
	s_or_b64 exec, exec, s[46:47]
	v_cmp_lt_u32_e64 s[20:21], 2, v20
	s_and_saveexec_b64 s[46:47], s[20:21]
	s_cbranch_execnz .LBB0_187
.LBB0_177:                              ;   in Loop: Header=BB0_162 Depth=2
	s_or_b64 exec, exec, s[46:47]
	v_cmp_lt_u32_e64 s[20:21], 3, v20
	s_and_saveexec_b64 s[46:47], s[20:21]
	s_cbranch_execnz .LBB0_188
.LBB0_178:                              ;   in Loop: Header=BB0_162 Depth=2
	s_or_b64 exec, exec, s[46:47]
	v_cmp_lt_u32_e64 s[20:21], 4, v20
	s_and_saveexec_b64 s[46:47], s[20:21]
	s_cbranch_execnz .LBB0_189
.LBB0_179:                              ;   in Loop: Header=BB0_162 Depth=2
	s_or_b64 exec, exec, s[46:47]
	v_cmp_lt_u32_e64 s[20:21], 5, v20
	s_and_saveexec_b64 s[46:47], s[20:21]
	s_cbranch_execnz .LBB0_190
.LBB0_180:                              ;   in Loop: Header=BB0_162 Depth=2
	s_or_b64 exec, exec, s[46:47]
	v_cmp_lt_u32_e64 s[20:21], 6, v20
	s_and_saveexec_b64 s[46:47], s[20:21]
	s_cbranch_execnz .LBB0_191
.LBB0_181:                              ;   in Loop: Header=BB0_162 Depth=2
	s_or_b64 exec, exec, s[46:47]
	s_and_saveexec_b64 s[20:21], vcc
	s_cbranch_execz .LBB0_183
.LBB0_182:                              ;   in Loop: Header=BB0_162 Depth=2
	v_lshrrev_b32_e32 v12, 24, v11
	flat_store_byte v[0:1], v12 offset:7
.LBB0_183:                              ;   in Loop: Header=BB0_162 Depth=2
	s_or_b64 exec, exec, s[20:21]
	s_mov_b64 s[20:21], 0
.LBB0_184:                              ;   in Loop: Header=BB0_162 Depth=2
	s_and_b64 vcc, exec, s[20:21]
	s_cbranch_vccz .LBB0_161
; %bb.185:                              ;   in Loop: Header=BB0_162 Depth=2
	global_store_dwordx2 v[0:1], v[10:11], off
	s_branch .LBB0_161
.LBB0_186:                              ;   in Loop: Header=BB0_162 Depth=2
	v_lshrrev_b32_e32 v13, 8, v10
	flat_store_byte v[0:1], v13 offset:1
	s_or_b64 exec, exec, s[46:47]
	v_cmp_lt_u32_e64 s[20:21], 2, v20
	s_and_saveexec_b64 s[46:47], s[20:21]
	s_cbranch_execz .LBB0_177
.LBB0_187:                              ;   in Loop: Header=BB0_162 Depth=2
	flat_store_byte_d16_hi v[0:1], v10 offset:2
	s_or_b64 exec, exec, s[46:47]
	v_cmp_lt_u32_e64 s[20:21], 3, v20
	s_and_saveexec_b64 s[46:47], s[20:21]
	s_cbranch_execz .LBB0_178
.LBB0_188:                              ;   in Loop: Header=BB0_162 Depth=2
	v_lshrrev_b32_e32 v13, 24, v10
	flat_store_byte v[0:1], v13 offset:3
	s_or_b64 exec, exec, s[46:47]
	v_cmp_lt_u32_e64 s[20:21], 4, v20
	s_and_saveexec_b64 s[46:47], s[20:21]
	s_cbranch_execz .LBB0_179
.LBB0_189:                              ;   in Loop: Header=BB0_162 Depth=2
	flat_store_byte v[0:1], v12 offset:4
	s_or_b64 exec, exec, s[46:47]
	v_cmp_lt_u32_e64 s[20:21], 5, v20
	s_and_saveexec_b64 s[46:47], s[20:21]
	s_cbranch_execz .LBB0_180
.LBB0_190:                              ;   in Loop: Header=BB0_162 Depth=2
	v_lshrrev_b32_e32 v12, 8, v11
	flat_store_byte v[0:1], v12 offset:5
	s_or_b64 exec, exec, s[46:47]
	v_cmp_lt_u32_e64 s[20:21], 6, v20
	s_and_saveexec_b64 s[46:47], s[20:21]
	s_cbranch_execz .LBB0_181
.LBB0_191:                              ;   in Loop: Header=BB0_162 Depth=2
	flat_store_byte_d16_hi v[0:1], v11 offset:6
	s_or_b64 exec, exec, s[46:47]
	s_and_saveexec_b64 s[20:21], vcc
	s_cbranch_execnz .LBB0_182
	s_branch .LBB0_183
.LBB0_192:                              ;   in Loop: Header=BB0_63 Depth=1
	s_or_b64 exec, exec, s[44:45]
	v_accvgpr_read_b32 v19, a15
	v_accvgpr_read_b32 v18, a14
	;; [unrolled: 1-line block ×3, first 2 shown]
	s_or_b64 exec, exec, s[42:43]
	s_and_saveexec_b64 s[20:21], s[14:15]
	s_cbranch_execz .LBB0_102
.LBB0_193:                              ;   in Loop: Header=BB0_63 Depth=1
	s_and_saveexec_b64 vcc, s[30:31]
	s_xor_b64 s[42:43], exec, vcc
	s_cbranch_execz .LBB0_237
; %bb.194:                              ;   in Loop: Header=BB0_63 Depth=1
	s_and_saveexec_b64 s[44:45], s[16:17]
	s_cbranch_execz .LBB0_236
; %bb.195:                              ;   in Loop: Header=BB0_63 Depth=1
	s_mov_b64 s[48:49], exec
	v_mbcnt_lo_u32_b32 v1, s48, 0
	v_mbcnt_hi_u32_b32 v1, s49, v1
	v_cmp_eq_u32_e32 vcc, 0, v1
	s_waitcnt vmcnt(0) lgkmcnt(0)
	buffer_wbinvl1_vol
	s_and_saveexec_b64 s[46:47], vcc
	s_cbranch_execz .LBB0_197
; %bb.196:                              ;   in Loop: Header=BB0_63 Depth=1
	s_bcnt1_i32_b64 vcc_lo, s[48:49]
	v_mov_b32_e32 v52, vcc_lo
	ds_add_u64 v0, v[52:53]
	s_trap 2
.LBB0_197:                              ;   in Loop: Header=BB0_63 Depth=1
	s_or_b64 exec, exec, s[46:47]
	s_trap 2
	ds_read_b64 v[10:11], v0
	v_accvgpr_read_b32 v12, a16
	v_add_co_u32_e32 v40, vcc, v40, v12
	v_accvgpr_read_b32 v1, a17
	v_addc_co_u32_e32 v41, vcc, v41, v1, vcc
	s_waitcnt lgkmcnt(0)
	v_cmp_lt_u64_e32 vcc, v[10:11], v[40:41]
	s_and_saveexec_b64 s[46:47], vcc
	s_cbranch_execz .LBB0_235
; %bb.198:                              ;   in Loop: Header=BB0_63 Depth=1
	s_mov_b32 s59, 0
	s_mov_b64 s[48:49], 0
                                        ; implicit-def: $sgpr50_sgpr51
                                        ; implicit-def: $sgpr52_sgpr53
	s_branch .LBB0_200
.LBB0_199:                              ;   in Loop: Header=BB0_200 Depth=2
	s_or_b64 exec, exec, s[56:57]
	s_and_b64 vcc, exec, vcc
	s_or_b64 s[48:49], vcc, s[48:49]
	s_andn2_b64 vcc, s[50:51], exec
	s_and_b64 s[50:51], s[52:53], exec
	s_or_b64 s[50:51], vcc, s[50:51]
	s_andn2_b64 exec, exec, s[48:49]
	s_cbranch_execz .LBB0_233
.LBB0_200:                              ;   Parent Loop BB0_63 Depth=1
                                        ; =>  This Inner Loop Header: Depth=2
	s_add_i32 s59, s59, 1
	s_cmpk_lg_i32 s59, 0x2710
	s_cselect_b64 s[54:55], -1, 0
	s_and_b64 vcc, exec, s[54:55]
                                        ; implicit-def: $sgpr56_sgpr57
	s_cbranch_vccnz .LBB0_202
; %bb.201:                              ;   in Loop: Header=BB0_200 Depth=2
	s_trap 2
	ds_read_b64 v[10:11], v0
	s_andn2_b64 s[54:55], s[54:55], exec
	s_mov_b32 s59, 0
	s_mov_b64 s[56:57], -1
	s_waitcnt lgkmcnt(0)
	flat_load_dword v1, v[10:11] glc
	s_waitcnt vmcnt(0) lgkmcnt(0)
	buffer_invl2
	buffer_wbinvl1_vol
	v_cmp_eq_u32_e32 vcc, 0, v1
	s_and_b64 vcc, vcc, exec
	s_or_b64 s[54:55], s[54:55], vcc
.LBB0_202:                              ;   in Loop: Header=BB0_200 Depth=2
	s_andn2_b64 s[52:53], s[52:53], exec
	s_and_b64 s[56:57], s[56:57], exec
	s_mov_b64 vcc, -1
	s_or_b64 s[52:53], s[52:53], s[56:57]
	s_and_saveexec_b64 s[56:57], s[54:55]
	s_cbranch_execz .LBB0_199
; %bb.203:                              ;   in Loop: Header=BB0_200 Depth=2
	s_sleep 1
	s_trap 2
	ds_read_b64 v[10:11], v0
	s_andn2_b64 s[52:53], s[52:53], exec
	s_waitcnt lgkmcnt(0)
	v_cmp_ge_u64_e32 vcc, v[10:11], v[40:41]
	s_orn2_b64 vcc, vcc, exec
	s_branch .LBB0_199
.LBB0_204:                              ;   in Loop: Header=BB0_63 Depth=1
	s_or_b64 exec, exec, s[44:45]
	v_accvgpr_read_b32 v19, a15
	v_accvgpr_read_b32 v18, a14
	s_or_b64 exec, exec, s[42:43]
	s_and_saveexec_b64 s[20:21], s[14:15]
	s_cbranch_execz .LBB0_111
.LBB0_205:                              ;   in Loop: Header=BB0_63 Depth=1
	s_and_saveexec_b64 vcc, s[30:31]
	s_xor_b64 s[42:43], exec, vcc
	s_cbranch_execz .LBB0_244
; %bb.206:                              ;   in Loop: Header=BB0_63 Depth=1
	s_and_saveexec_b64 s[44:45], s[16:17]
	s_cbranch_execz .LBB0_243
; %bb.207:                              ;   in Loop: Header=BB0_63 Depth=1
	s_mov_b64 s[48:49], exec
	v_mbcnt_lo_u32_b32 v0, s48, 0
	v_mbcnt_hi_u32_b32 v0, s49, v0
	v_cmp_eq_u32_e32 vcc, 0, v0
	s_waitcnt vmcnt(0) lgkmcnt(0)
	buffer_wbinvl1_vol
	s_and_saveexec_b64 s[46:47], vcc
	s_cbranch_execz .LBB0_209
; %bb.208:                              ;   in Loop: Header=BB0_63 Depth=1
	s_bcnt1_i32_b64 vcc_lo, s[48:49]
	v_mov_b32_e32 v52, vcc_lo
	ds_add_u64 v0, v[52:53]
	s_trap 2
.LBB0_209:                              ;   in Loop: Header=BB0_63 Depth=1
	s_or_b64 exec, exec, s[46:47]
	s_trap 2
	ds_read_b64 v[0:1], v0
	v_accvgpr_read_b32 v10, a16
	v_add_co_u32_e32 v40, vcc, v40, v10
	v_accvgpr_read_b32 v11, a17
	v_addc_co_u32_e32 v41, vcc, v41, v11, vcc
	s_waitcnt lgkmcnt(0)
	v_cmp_lt_u64_e32 vcc, v[0:1], v[40:41]
	s_and_saveexec_b64 s[46:47], vcc
	s_cbranch_execz .LBB0_242
; %bb.210:                              ;   in Loop: Header=BB0_63 Depth=1
	s_mov_b32 s59, 0
	s_mov_b64 s[48:49], 0
                                        ; implicit-def: $sgpr50_sgpr51
                                        ; implicit-def: $sgpr52_sgpr53
	s_branch .LBB0_212
.LBB0_211:                              ;   in Loop: Header=BB0_212 Depth=2
	s_or_b64 exec, exec, s[56:57]
	s_and_b64 vcc, exec, vcc
	s_or_b64 s[48:49], vcc, s[48:49]
	s_andn2_b64 vcc, s[50:51], exec
	s_and_b64 s[50:51], s[52:53], exec
	s_or_b64 s[50:51], vcc, s[50:51]
	s_andn2_b64 exec, exec, s[48:49]
	s_cbranch_execz .LBB0_240
.LBB0_212:                              ;   Parent Loop BB0_63 Depth=1
                                        ; =>  This Inner Loop Header: Depth=2
	s_add_i32 s59, s59, 1
	s_cmpk_lg_i32 s59, 0x2710
	s_cselect_b64 s[54:55], -1, 0
	s_and_b64 vcc, exec, s[54:55]
                                        ; implicit-def: $sgpr56_sgpr57
	s_cbranch_vccnz .LBB0_214
; %bb.213:                              ;   in Loop: Header=BB0_212 Depth=2
	s_trap 2
	ds_read_b64 v[0:1], v0
	s_andn2_b64 s[54:55], s[54:55], exec
	s_mov_b32 s59, 0
	s_mov_b64 s[56:57], -1
	s_waitcnt lgkmcnt(0)
	flat_load_dword v0, v[0:1] glc
	s_waitcnt vmcnt(0) lgkmcnt(0)
	buffer_invl2
	buffer_wbinvl1_vol
	v_cmp_eq_u32_e32 vcc, 0, v0
	s_and_b64 vcc, vcc, exec
	s_or_b64 s[54:55], s[54:55], vcc
.LBB0_214:                              ;   in Loop: Header=BB0_212 Depth=2
	s_andn2_b64 s[52:53], s[52:53], exec
	s_and_b64 s[56:57], s[56:57], exec
	s_mov_b64 vcc, -1
	s_or_b64 s[52:53], s[52:53], s[56:57]
	s_and_saveexec_b64 s[56:57], s[54:55]
	s_cbranch_execz .LBB0_211
; %bb.215:                              ;   in Loop: Header=BB0_212 Depth=2
	s_sleep 1
	s_trap 2
	ds_read_b64 v[0:1], v0
	s_andn2_b64 s[52:53], s[52:53], exec
	s_waitcnt lgkmcnt(0)
	v_cmp_ge_u64_e32 vcc, v[0:1], v[40:41]
	s_orn2_b64 vcc, vcc, exec
	s_branch .LBB0_211
.LBB0_216:                              ;   in Loop: Header=BB0_63 Depth=1
	s_or_b64 exec, exec, s[46:47]
.LBB0_217:                              ;   in Loop: Header=BB0_63 Depth=1
	s_or_b64 exec, exec, s[44:45]
.LBB0_218:                              ;   in Loop: Header=BB0_63 Depth=1
	s_or_b64 exec, exec, s[42:43]
	s_and_saveexec_b64 s[42:43], s[12:13]
	s_cbranch_execz .LBB0_220
; %bb.219:                              ;   in Loop: Header=BB0_63 Depth=1
	v_and_b32_e32 v52, 0x7ffffff8, v8
	v_cmp_eq_u64_e32 vcc, s[36:37], v[52:53]
	v_cndmask_b32_e32 v9, v11, v62, vcc
	v_lshlrev_b32_e32 v12, 4, v9
	v_and_b32_e32 v8, 7, v8
	v_ashrrev_i32_e32 v13, 31, v12
	v_mad_u64_u32 v[8:9], vcc, v8, 24, v[6:7]
	flat_store_dwordx2 v[8:9], v[12:13] offset:8
	s_waitcnt vmcnt(0)
.LBB0_220:                              ;   in Loop: Header=BB0_63 Depth=1
	s_or_b64 exec, exec, s[42:43]
	v_pk_mov_b32 v[8:9], v[0:1], v[0:1] op_sel:[0,1]
.LBB0_221:                              ;   in Loop: Header=BB0_63 Depth=1
	s_or_b64 exec, exec, s[20:21]
	s_and_saveexec_b64 s[20:21], s[14:15]
	s_cbranch_execz .LBB0_254
; %bb.222:                              ;   in Loop: Header=BB0_63 Depth=1
	s_and_saveexec_b64 vcc, s[30:31]
	s_xor_b64 s[42:43], exec, vcc
	s_cbranch_execz .LBB0_251
; %bb.223:                              ;   in Loop: Header=BB0_63 Depth=1
	s_and_saveexec_b64 s[44:45], s[16:17]
	s_cbranch_execz .LBB0_250
; %bb.224:                              ;   in Loop: Header=BB0_63 Depth=1
	s_mov_b64 s[48:49], exec
	v_mbcnt_lo_u32_b32 v0, s48, 0
	v_mbcnt_hi_u32_b32 v0, s49, v0
	v_cmp_eq_u32_e32 vcc, 0, v0
	s_waitcnt vmcnt(0) lgkmcnt(0)
	buffer_wbinvl1_vol
	s_and_saveexec_b64 s[46:47], vcc
	s_cbranch_execz .LBB0_226
; %bb.225:                              ;   in Loop: Header=BB0_63 Depth=1
	s_bcnt1_i32_b64 vcc_lo, s[48:49]
	v_mov_b32_e32 v52, vcc_lo
	ds_add_u64 v0, v[52:53]
	s_trap 2
.LBB0_226:                              ;   in Loop: Header=BB0_63 Depth=1
	s_or_b64 exec, exec, s[46:47]
	s_trap 2
	ds_read_b64 v[0:1], v0
	v_accvgpr_read_b32 v12, a16
	v_add_co_u32_e32 v40, vcc, v40, v12
	v_accvgpr_read_b32 v11, a17
	v_addc_co_u32_e32 v41, vcc, v41, v11, vcc
	s_waitcnt lgkmcnt(0)
	v_cmp_lt_u64_e32 vcc, v[0:1], v[40:41]
	s_and_saveexec_b64 s[46:47], vcc
	s_cbranch_execz .LBB0_249
; %bb.227:                              ;   in Loop: Header=BB0_63 Depth=1
	s_mov_b32 s59, 0
	s_mov_b64 s[48:49], 0
                                        ; implicit-def: $sgpr50_sgpr51
                                        ; implicit-def: $sgpr52_sgpr53
	s_branch .LBB0_229
.LBB0_228:                              ;   in Loop: Header=BB0_229 Depth=2
	s_or_b64 exec, exec, s[56:57]
	s_and_b64 vcc, exec, vcc
	s_or_b64 s[48:49], vcc, s[48:49]
	s_andn2_b64 vcc, s[50:51], exec
	s_and_b64 s[50:51], s[52:53], exec
	s_or_b64 s[50:51], vcc, s[50:51]
	s_andn2_b64 exec, exec, s[48:49]
	s_cbranch_execz .LBB0_247
.LBB0_229:                              ;   Parent Loop BB0_63 Depth=1
                                        ; =>  This Inner Loop Header: Depth=2
	s_add_i32 s59, s59, 1
	s_cmpk_lg_i32 s59, 0x2710
	s_cselect_b64 s[54:55], -1, 0
	s_and_b64 vcc, exec, s[54:55]
                                        ; implicit-def: $sgpr56_sgpr57
	s_cbranch_vccnz .LBB0_231
; %bb.230:                              ;   in Loop: Header=BB0_229 Depth=2
	s_trap 2
	ds_read_b64 v[0:1], v0
	s_andn2_b64 s[54:55], s[54:55], exec
	s_mov_b32 s59, 0
	s_mov_b64 s[56:57], -1
	s_waitcnt lgkmcnt(0)
	flat_load_dword v0, v[0:1] glc
	s_waitcnt vmcnt(0) lgkmcnt(0)
	buffer_invl2
	buffer_wbinvl1_vol
	v_cmp_eq_u32_e32 vcc, 0, v0
	s_and_b64 vcc, vcc, exec
	s_or_b64 s[54:55], s[54:55], vcc
.LBB0_231:                              ;   in Loop: Header=BB0_229 Depth=2
	s_andn2_b64 s[52:53], s[52:53], exec
	s_and_b64 s[56:57], s[56:57], exec
	s_mov_b64 vcc, -1
	s_or_b64 s[52:53], s[52:53], s[56:57]
	s_and_saveexec_b64 s[56:57], s[54:55]
	s_cbranch_execz .LBB0_228
; %bb.232:                              ;   in Loop: Header=BB0_229 Depth=2
	s_sleep 1
	s_trap 2
	ds_read_b64 v[0:1], v0
	s_andn2_b64 s[52:53], s[52:53], exec
	s_waitcnt lgkmcnt(0)
	v_cmp_ge_u64_e32 vcc, v[0:1], v[40:41]
	s_orn2_b64 vcc, vcc, exec
	s_branch .LBB0_228
.LBB0_233:                              ;   in Loop: Header=BB0_63 Depth=1
	s_or_b64 exec, exec, s[48:49]
	s_and_saveexec_b64 vcc, s[50:51]
	s_xor_b64 vcc, exec, vcc
	s_cbranch_execz .LBB0_235
; %bb.234:                              ;   in Loop: Header=BB0_63 Depth=1
	v_mov_b32_e32 v1, 1
	ds_write_b32 v0, v1
	s_trap 2
.LBB0_235:                              ;   in Loop: Header=BB0_63 Depth=1
	s_or_b64 exec, exec, s[46:47]
	;;#ASMSTART
	s_wakeup
	;;#ASMEND
.LBB0_236:                              ;   in Loop: Header=BB0_63 Depth=1
	s_or_b64 exec, exec, s[44:45]
.LBB0_237:                              ;   in Loop: Header=BB0_63 Depth=1
	s_andn2_saveexec_b64 vcc, s[42:43]
	s_cbranch_execz .LBB0_239
; %bb.238:                              ;   in Loop: Header=BB0_63 Depth=1
	s_waitcnt vmcnt(0) lgkmcnt(0)
	buffer_wbinvl1_vol
	s_barrier
.LBB0_239:                              ;   in Loop: Header=BB0_63 Depth=1
	s_or_b64 exec, exec, vcc
	s_or_b64 exec, exec, s[20:21]
	s_and_saveexec_b64 s[20:21], s[18:19]
	s_cbranch_execnz .LBB0_103
	s_branch .LBB0_104
.LBB0_240:                              ;   in Loop: Header=BB0_63 Depth=1
	s_or_b64 exec, exec, s[48:49]
	s_and_saveexec_b64 vcc, s[50:51]
	s_xor_b64 vcc, exec, vcc
	s_cbranch_execz .LBB0_242
; %bb.241:                              ;   in Loop: Header=BB0_63 Depth=1
	v_mov_b32_e32 v0, 1
	ds_write_b32 v0, v0
	s_trap 2
.LBB0_242:                              ;   in Loop: Header=BB0_63 Depth=1
	s_or_b64 exec, exec, s[46:47]
	;;#ASMSTART
	s_wakeup
	;;#ASMEND
.LBB0_243:                              ;   in Loop: Header=BB0_63 Depth=1
	s_or_b64 exec, exec, s[44:45]
.LBB0_244:                              ;   in Loop: Header=BB0_63 Depth=1
	s_andn2_saveexec_b64 vcc, s[42:43]
	s_cbranch_execz .LBB0_246
; %bb.245:                              ;   in Loop: Header=BB0_63 Depth=1
	s_waitcnt vmcnt(0) lgkmcnt(0)
	buffer_wbinvl1_vol
	s_barrier
.LBB0_246:                              ;   in Loop: Header=BB0_63 Depth=1
	s_or_b64 exec, exec, vcc
	s_or_b64 exec, exec, s[20:21]
	s_and_saveexec_b64 s[20:21], s[18:19]
	s_cbranch_execnz .LBB0_112
	s_branch .LBB0_113
.LBB0_247:                              ;   in Loop: Header=BB0_63 Depth=1
	s_or_b64 exec, exec, s[48:49]
	s_and_saveexec_b64 vcc, s[50:51]
	s_xor_b64 vcc, exec, vcc
	s_cbranch_execz .LBB0_249
; %bb.248:                              ;   in Loop: Header=BB0_63 Depth=1
	v_mov_b32_e32 v0, 1
	ds_write_b32 v0, v0
	s_trap 2
.LBB0_249:                              ;   in Loop: Header=BB0_63 Depth=1
	s_or_b64 exec, exec, s[46:47]
	;;#ASMSTART
	s_wakeup
	;;#ASMEND
.LBB0_250:                              ;   in Loop: Header=BB0_63 Depth=1
	s_or_b64 exec, exec, s[44:45]
.LBB0_251:                              ;   in Loop: Header=BB0_63 Depth=1
	s_andn2_saveexec_b64 vcc, s[42:43]
	s_cbranch_execz .LBB0_253
; %bb.252:                              ;   in Loop: Header=BB0_63 Depth=1
	s_waitcnt vmcnt(0) lgkmcnt(0)
	buffer_wbinvl1_vol
	s_barrier
.LBB0_253:                              ;   in Loop: Header=BB0_63 Depth=1
	s_or_b64 exec, exec, vcc
.LBB0_254:                              ;   in Loop: Header=BB0_63 Depth=1
	s_or_b64 exec, exec, s[20:21]
	v_sub_u32_e32 v1, v10, v42
	v_cmp_lt_i32_e32 vcc, 0, v1
	v_mov_b32_e32 v0, v22
	s_and_saveexec_b64 s[42:43], vcc
	s_cbranch_execz .LBB0_280
; %bb.255:                              ;   in Loop: Header=BB0_63 Depth=1
	v_and_b32_e32 v0, 7, v32
	v_mul_lo_u32 v12, v0, v62
	v_ashrrev_i32_e32 v13, 31, v12
	v_mov_b32_e32 v11, v32
	v_add_co_u32_e64 v25, vcc, 0, 0
	v_addc_co_u32_e32 v11, vcc, 1, v11, vcc
	v_lshlrev_b64 v[12:13], 4, v[12:13]
	v_accvgpr_read_b32 v0, a21
	v_add_co_u32_e32 v14, vcc, v0, v12
	v_accvgpr_read_b32 v0, a22
	v_addc_co_u32_e32 v15, vcc, v0, v13, vcc
	s_mov_b64 s[44:45], 0
	v_pk_mov_b32 v[16:17], v[60:61], v[60:61] op_sel:[0,1]
	v_mov_b32_e32 v28, v3
	v_pk_mov_b32 v[20:21], v[56:57], v[56:57] op_sel:[0,1]
	v_mov_b32_e32 v0, v22
	s_branch .LBB0_257
.LBB0_256:                              ;   in Loop: Header=BB0_257 Depth=2
	v_add_co_u32_e32 v20, vcc, v20, v44
	v_addc_co_u32_e32 v21, vcc, v21, v45, vcc
	v_add_co_u32_e32 v16, vcc, v16, v44
	v_sub_u32_e32 v1, v1, v44
	v_addc_co_u32_e32 v17, vcc, v17, v45, vcc
	v_cmp_gt_i32_e32 vcc, 1, v1
	s_or_b64 s[44:45], vcc, s[44:45]
	v_add_co_u32_e32 v14, vcc, v14, v46
	v_add_u32_e32 v0, v0, v2
	v_add_u32_e32 v28, v28, v24
	v_addc_co_u32_e32 v15, vcc, v15, v47, vcc
	s_andn2_b64 exec, exec, s[44:45]
	s_cbranch_execz .LBB0_279
.LBB0_257:                              ;   Parent Loop BB0_63 Depth=1
                                        ; =>  This Inner Loop Header: Depth=2
	v_add_co_u32_e32 v18, vcc, v42, v20
	v_addc_co_u32_e32 v13, vcc, v43, v21, vcc
	v_and_b32_e32 v12, -4, v18
	global_load_dword v10, v[12:13], off glc slc
	v_min_u32_e32 v19, 8, v1
	v_and_b32_e32 v18, 3, v18
	v_add_co_u32_e32 v36, vcc, v18, v19
	v_addc_co_u32_e64 v37, s[20:21], 0, 0, vcc
	v_mov_b32_e32 v29, 0
	v_cmp_lt_u64_e32 vcc, 4, v[36:37]
	v_mov_b32_e32 v31, 0
	s_and_saveexec_b64 s[20:21], vcc
	s_cbranch_execz .LBB0_259
; %bb.258:                              ;   in Loop: Header=BB0_257 Depth=2
	global_load_dword v31, v[12:13], off offset:4 glc slc
.LBB0_259:                              ;   in Loop: Header=BB0_257 Depth=2
	s_or_b64 exec, exec, s[20:21]
	v_cmp_lt_u64_e32 vcc, 8, v[36:37]
	s_and_saveexec_b64 s[20:21], vcc
	s_cbranch_execz .LBB0_261
; %bb.260:                              ;   in Loop: Header=BB0_257 Depth=2
	global_load_dword v29, v[12:13], off offset:8 glc slc
.LBB0_261:                              ;   in Loop: Header=BB0_257 Depth=2
	s_or_b64 exec, exec, s[20:21]
	v_add_co_u32_e32 v36, vcc, v16, v42
	v_addc_co_u32_e32 v37, vcc, v17, v43, vcc
	s_waitcnt vmcnt(0)
	v_alignbit_b32 v54, v31, v10, v28
	v_alignbit_b32 v55, v29, v31, v28
	v_or_b32_e32 v10, v25, v54
	v_or_b32_e32 v12, v25, v55
	v_mov_b32_e32 v13, v11
	v_cmp_lt_u32_e32 vcc, 7, v1
	global_store_dwordx4 v[14:15], v[10:13], off
	s_nop 0
	v_cndmask_b32_e64 v10, 0, 1, vcc
	;;#ASMSTART
	;;#ASMEND
	v_cmp_ne_u32_e64 s[20:21], 0, v10
	s_cmp_lg_u64 s[20:21], exec
	s_mov_b64 s[20:21], -1
	s_cbranch_scc0 .LBB0_271
; %bb.262:                              ;   in Loop: Header=BB0_257 Depth=2
	v_cmp_ne_u32_e64 s[20:21], 1, v1
	flat_store_byte v[36:37], v54
	s_and_saveexec_b64 s[46:47], s[20:21]
	s_cbranch_execnz .LBB0_273
; %bb.263:                              ;   in Loop: Header=BB0_257 Depth=2
	s_or_b64 exec, exec, s[46:47]
	v_cmp_lt_u32_e64 s[20:21], 2, v1
	s_and_saveexec_b64 s[46:47], s[20:21]
	s_cbranch_execnz .LBB0_274
.LBB0_264:                              ;   in Loop: Header=BB0_257 Depth=2
	s_or_b64 exec, exec, s[46:47]
	v_cmp_lt_u32_e64 s[20:21], 3, v1
	s_and_saveexec_b64 s[46:47], s[20:21]
	s_cbranch_execnz .LBB0_275
.LBB0_265:                              ;   in Loop: Header=BB0_257 Depth=2
	s_or_b64 exec, exec, s[46:47]
	v_cmp_lt_u32_e64 s[20:21], 4, v1
	s_and_saveexec_b64 s[46:47], s[20:21]
	s_cbranch_execnz .LBB0_276
.LBB0_266:                              ;   in Loop: Header=BB0_257 Depth=2
	s_or_b64 exec, exec, s[46:47]
	v_cmp_lt_u32_e64 s[20:21], 5, v1
	s_and_saveexec_b64 s[46:47], s[20:21]
	s_cbranch_execnz .LBB0_277
.LBB0_267:                              ;   in Loop: Header=BB0_257 Depth=2
	s_or_b64 exec, exec, s[46:47]
	v_cmp_lt_u32_e64 s[20:21], 6, v1
	s_and_saveexec_b64 s[46:47], s[20:21]
	s_cbranch_execnz .LBB0_278
.LBB0_268:                              ;   in Loop: Header=BB0_257 Depth=2
	s_or_b64 exec, exec, s[46:47]
	s_and_saveexec_b64 s[20:21], vcc
	s_cbranch_execz .LBB0_270
.LBB0_269:                              ;   in Loop: Header=BB0_257 Depth=2
	v_lshrrev_b32_e32 v10, 24, v55
	flat_store_byte v[36:37], v10 offset:7
.LBB0_270:                              ;   in Loop: Header=BB0_257 Depth=2
	s_or_b64 exec, exec, s[20:21]
	s_mov_b64 s[20:21], 0
.LBB0_271:                              ;   in Loop: Header=BB0_257 Depth=2
	s_and_b64 vcc, exec, s[20:21]
	s_cbranch_vccz .LBB0_256
; %bb.272:                              ;   in Loop: Header=BB0_257 Depth=2
	global_store_dwordx2 v[36:37], v[54:55], off
	s_branch .LBB0_256
.LBB0_273:                              ;   in Loop: Header=BB0_257 Depth=2
	v_lshrrev_b32_e32 v10, 8, v54
	flat_store_byte v[36:37], v10 offset:1
	s_or_b64 exec, exec, s[46:47]
	v_cmp_lt_u32_e64 s[20:21], 2, v1
	s_and_saveexec_b64 s[46:47], s[20:21]
	s_cbranch_execz .LBB0_264
.LBB0_274:                              ;   in Loop: Header=BB0_257 Depth=2
	flat_store_byte_d16_hi v[36:37], v54 offset:2
	s_or_b64 exec, exec, s[46:47]
	v_cmp_lt_u32_e64 s[20:21], 3, v1
	s_and_saveexec_b64 s[46:47], s[20:21]
	s_cbranch_execz .LBB0_265
.LBB0_275:                              ;   in Loop: Header=BB0_257 Depth=2
	v_lshrrev_b32_e32 v10, 24, v54
	flat_store_byte v[36:37], v10 offset:3
	s_or_b64 exec, exec, s[46:47]
	v_cmp_lt_u32_e64 s[20:21], 4, v1
	s_and_saveexec_b64 s[46:47], s[20:21]
	s_cbranch_execz .LBB0_266
.LBB0_276:                              ;   in Loop: Header=BB0_257 Depth=2
	flat_store_byte v[36:37], v55 offset:4
	s_or_b64 exec, exec, s[46:47]
	v_cmp_lt_u32_e64 s[20:21], 5, v1
	s_and_saveexec_b64 s[46:47], s[20:21]
	s_cbranch_execz .LBB0_267
.LBB0_277:                              ;   in Loop: Header=BB0_257 Depth=2
	v_lshrrev_b32_e32 v10, 8, v55
	flat_store_byte v[36:37], v10 offset:5
	s_or_b64 exec, exec, s[46:47]
	v_cmp_lt_u32_e64 s[20:21], 6, v1
	s_and_saveexec_b64 s[46:47], s[20:21]
	s_cbranch_execz .LBB0_268
.LBB0_278:                              ;   in Loop: Header=BB0_257 Depth=2
	flat_store_byte_d16_hi v[36:37], v55 offset:6
	s_or_b64 exec, exec, s[46:47]
	s_and_saveexec_b64 s[20:21], vcc
	s_cbranch_execnz .LBB0_269
	s_branch .LBB0_270
.LBB0_279:                              ;   in Loop: Header=BB0_63 Depth=1
	s_or_b64 exec, exec, s[44:45]
	v_accvgpr_read_b32 v19, a15
	v_accvgpr_read_b32 v18, a14
	;; [unrolled: 1-line block ×3, first 2 shown]
.LBB0_280:                              ;   in Loop: Header=BB0_63 Depth=1
	s_or_b64 exec, exec, s[42:43]
	v_and_b32_e32 v52, 0x7ffffff8, v32
	v_cmp_eq_u64_e32 vcc, s[36:37], v[52:53]
	v_cmp_gt_i32_e64 s[20:21], v62, v0
	s_and_b64 s[20:21], vcc, s[20:21]
	s_and_saveexec_b64 s[42:43], s[20:21]
	s_cbranch_execz .LBB0_283
; %bb.281:                              ;   in Loop: Header=BB0_63 Depth=1
	v_and_b32_e32 v1, 7, v32
	v_mul_lo_u32 v12, v1, v62
	v_mov_b32_e32 v1, v32
	v_add_co_u32_e64 v10, vcc, 0, 0
	v_ashrrev_i32_e32 v13, 31, v12
	v_addc_co_u32_e32 v11, vcc, 1, v1, vcc
	v_ashrrev_i32_e32 v1, 31, v0
	v_lshlrev_b64 v[14:15], 4, v[0:1]
	v_lshlrev_b64 v[12:13], 4, v[12:13]
	v_add_co_u32_e32 v1, vcc, v14, v12
	v_addc_co_u32_e32 v12, vcc, v15, v13, vcc
	v_accvgpr_read_b32 v15, a11
	v_accvgpr_read_b32 v14, a10
	v_add_co_u32_e32 v14, vcc, v14, v1
	v_addc_co_u32_e32 v15, vcc, v15, v12, vcc
	s_mov_b64 s[44:45], 0
.LBB0_282:                              ;   Parent Loop BB0_63 Depth=1
                                        ; =>  This Inner Loop Header: Depth=2
	v_mov_b32_e32 v12, v10
	v_mov_b32_e32 v13, v11
	v_add_u32_e32 v0, v0, v2
	global_store_dwordx4 v[14:15], v[10:13], off
	v_cmp_ge_i32_e32 vcc, v0, v62
	v_add_co_u32_e64 v14, s[20:21], v14, v46
	s_or_b64 s[44:45], vcc, s[44:45]
	v_addc_co_u32_e64 v15, vcc, v15, v47, s[20:21]
	s_andn2_b64 exec, exec, s[44:45]
	s_cbranch_execnz .LBB0_282
.LBB0_283:                              ;   in Loop: Header=BB0_63 Depth=1
	s_or_b64 exec, exec, s[42:43]
	v_add_co_u32_e32 v32, vcc, 1, v32
	v_addc_co_u32_e32 v33, vcc, 0, v33, vcc
                                        ; implicit-def: $vgpr11
                                        ; implicit-def: $vgpr10
.LBB0_284:                              ;   in Loop: Header=BB0_63 Depth=1
	s_andn2_saveexec_b64 s[40:41], s[40:41]
	s_cbranch_execz .LBB0_61
; %bb.285:                              ;   in Loop: Header=BB0_63 Depth=1
	s_and_saveexec_b64 s[20:21], s[10:11]
	s_cbranch_execz .LBB0_301
; %bb.286:                              ;   in Loop: Header=BB0_63 Depth=1
	v_add_co_u32_e32 v0, vcc, 1, v8
	v_addc_co_u32_e32 v1, vcc, 0, v9, vcc
	s_waitcnt vmcnt(0) lgkmcnt(0)
	v_add_co_u32_e32 v12, vcc, 8, v48
	v_addc_co_u32_e32 v13, vcc, 0, v49, vcc
	v_cmp_lt_u64_e32 vcc, v[12:13], v[0:1]
	s_and_saveexec_b64 s[42:43], vcc
	s_cbranch_execz .LBB0_298
; %bb.287:                              ;   in Loop: Header=BB0_63 Depth=1
	s_sleep 1
	flat_load_dwordx2 v[48:49], v[38:39] glc
	v_cmp_eq_u32_e32 vcc, 0, v23
	s_and_saveexec_b64 s[44:45], vcc
	s_cbranch_execz .LBB0_297
; %bb.288:                              ;   in Loop: Header=BB0_63 Depth=1
	v_cndmask_b32_e64 v9, 0, 1, vcc
	s_mov_b64 s[46:47], 0
                                        ; implicit-def: $sgpr48_sgpr49
	s_branch .LBB0_292
.LBB0_289:                              ;   in Loop: Header=BB0_292 Depth=2
	s_or_b64 exec, exec, s[56:57]
	s_orn2_b64 s[54:55], s[54:55], exec
.LBB0_290:                              ;   in Loop: Header=BB0_292 Depth=2
	s_or_b64 exec, exec, s[52:53]
	s_xor_b64 vcc, s[54:55], -1
	s_andn2_b64 s[48:49], s[48:49], exec
	s_and_b64 vcc, vcc, exec
	s_or_b64 s[48:49], s[48:49], vcc
.LBB0_291:                              ;   in Loop: Header=BB0_292 Depth=2
	s_or_b64 exec, exec, s[50:51]
	s_and_b64 vcc, exec, s[48:49]
	s_or_b64 s[46:47], vcc, s[46:47]
	s_andn2_b64 exec, exec, s[46:47]
	s_cbranch_execz .LBB0_296
.LBB0_292:                              ;   Parent Loop BB0_63 Depth=1
                                        ; =>  This Inner Loop Header: Depth=2
	s_waitcnt vmcnt(0) lgkmcnt(0)
	v_add_co_u32_e32 v12, vcc, 8, v48
	v_addc_co_u32_e32 v13, vcc, 0, v49, vcc
	v_cmp_lt_u64_e32 vcc, v[12:13], v[0:1]
	v_mov_b32_e32 v23, 0
	s_or_b64 s[48:49], s[48:49], exec
	s_and_saveexec_b64 s[50:51], vcc
	s_cbranch_execz .LBB0_291
; %bb.293:                              ;   in Loop: Header=BB0_292 Depth=2
	s_sleep 1
	flat_load_dwordx2 v[48:49], v[38:39] glc
	v_add_u32_e32 v9, 1, v9
	v_cmp_eq_u32_e32 vcc, s58, v9
	s_mov_b64 s[54:55], -1
	v_mov_b32_e32 v23, 0
	s_and_saveexec_b64 s[52:53], vcc
	s_cbranch_execz .LBB0_290
; %bb.294:                              ;   in Loop: Header=BB0_292 Depth=2
	s_trap 2
	ds_read_b64 v[12:13], v0
	v_mov_b32_e32 v9, 0
	v_mov_b32_e32 v23, 0
	s_waitcnt vmcnt(0) lgkmcnt(0)
	flat_load_dword v12, v[12:13] glc
	s_waitcnt vmcnt(0) lgkmcnt(0)
	buffer_invl2
	buffer_wbinvl1_vol
	v_cmp_ne_u32_e32 vcc, 0, v12
	s_and_saveexec_b64 s[56:57], vcc
	s_cbranch_execz .LBB0_289
; %bb.295:                              ;   in Loop: Header=BB0_292 Depth=2
	v_mov_b32_e32 v23, 1
	s_xor_b64 s[54:55], exec, -1
	ds_write_b32 v0, v12
	s_trap 2
	s_branch .LBB0_289
.LBB0_296:                              ;   in Loop: Header=BB0_63 Depth=1
	s_or_b64 exec, exec, s[46:47]
.LBB0_297:                              ;   in Loop: Header=BB0_63 Depth=1
	s_or_b64 exec, exec, s[44:45]
.LBB0_298:                              ;   in Loop: Header=BB0_63 Depth=1
	s_or_b64 exec, exec, s[42:43]
	s_and_saveexec_b64 s[42:43], s[12:13]
	s_cbranch_execz .LBB0_300
; %bb.299:                              ;   in Loop: Header=BB0_63 Depth=1
	v_and_b32_e32 v52, 0x7ffffff8, v8
	v_cmp_eq_u64_e32 vcc, s[36:37], v[52:53]
	v_cndmask_b32_e32 v9, v11, v62, vcc
	v_lshlrev_b32_e32 v12, 4, v9
	v_and_b32_e32 v8, 7, v8
	v_ashrrev_i32_e32 v13, 31, v12
	v_mad_u64_u32 v[8:9], vcc, v8, 24, v[6:7]
	flat_store_dwordx2 v[8:9], v[12:13] offset:8
	s_waitcnt vmcnt(0)
.LBB0_300:                              ;   in Loop: Header=BB0_63 Depth=1
	s_or_b64 exec, exec, s[42:43]
	v_pk_mov_b32 v[8:9], v[0:1], v[0:1] op_sel:[0,1]
.LBB0_301:                              ;   in Loop: Header=BB0_63 Depth=1
	s_or_b64 exec, exec, s[20:21]
	s_and_saveexec_b64 s[20:21], s[14:15]
	s_cbranch_execz .LBB0_320
; %bb.302:                              ;   in Loop: Header=BB0_63 Depth=1
	s_and_saveexec_b64 vcc, s[30:31]
	s_xor_b64 s[42:43], exec, vcc
	s_cbranch_execz .LBB0_317
; %bb.303:                              ;   in Loop: Header=BB0_63 Depth=1
	s_and_saveexec_b64 s[44:45], s[16:17]
	s_cbranch_execz .LBB0_316
; %bb.304:                              ;   in Loop: Header=BB0_63 Depth=1
	s_mov_b64 s[48:49], exec
	v_mbcnt_lo_u32_b32 v0, s48, 0
	v_mbcnt_hi_u32_b32 v0, s49, v0
	v_cmp_eq_u32_e32 vcc, 0, v0
	s_waitcnt vmcnt(0) lgkmcnt(0)
	buffer_wbinvl1_vol
	s_and_saveexec_b64 s[46:47], vcc
	s_cbranch_execz .LBB0_306
; %bb.305:                              ;   in Loop: Header=BB0_63 Depth=1
	s_bcnt1_i32_b64 vcc_lo, s[48:49]
	v_mov_b32_e32 v52, vcc_lo
	ds_add_u64 v0, v[52:53]
	s_trap 2
.LBB0_306:                              ;   in Loop: Header=BB0_63 Depth=1
	s_or_b64 exec, exec, s[46:47]
	s_trap 2
	ds_read_b64 v[0:1], v0
	v_accvgpr_read_b32 v12, a16
	v_add_co_u32_e32 v40, vcc, v40, v12
	v_accvgpr_read_b32 v11, a17
	v_addc_co_u32_e32 v41, vcc, v41, v11, vcc
	s_waitcnt lgkmcnt(0)
	v_cmp_lt_u64_e32 vcc, v[0:1], v[40:41]
	s_and_saveexec_b64 s[46:47], vcc
	s_cbranch_execz .LBB0_315
; %bb.307:                              ;   in Loop: Header=BB0_63 Depth=1
	s_mov_b32 s59, 0
	s_mov_b64 s[48:49], 0
                                        ; implicit-def: $sgpr50_sgpr51
                                        ; implicit-def: $sgpr52_sgpr53
	s_branch .LBB0_309
.LBB0_308:                              ;   in Loop: Header=BB0_309 Depth=2
	s_or_b64 exec, exec, s[56:57]
	s_and_b64 vcc, exec, vcc
	s_or_b64 s[48:49], vcc, s[48:49]
	s_andn2_b64 vcc, s[50:51], exec
	s_and_b64 s[50:51], s[52:53], exec
	s_or_b64 s[50:51], vcc, s[50:51]
	s_andn2_b64 exec, exec, s[48:49]
	s_cbranch_execz .LBB0_313
.LBB0_309:                              ;   Parent Loop BB0_63 Depth=1
                                        ; =>  This Inner Loop Header: Depth=2
	s_add_i32 s59, s59, 1
	s_cmpk_lg_i32 s59, 0x2710
	s_cselect_b64 s[54:55], -1, 0
	s_and_b64 vcc, exec, s[54:55]
                                        ; implicit-def: $sgpr56_sgpr57
	s_cbranch_vccnz .LBB0_311
; %bb.310:                              ;   in Loop: Header=BB0_309 Depth=2
	s_trap 2
	ds_read_b64 v[0:1], v0
	s_andn2_b64 s[54:55], s[54:55], exec
	s_mov_b32 s59, 0
	s_mov_b64 s[56:57], -1
	s_waitcnt lgkmcnt(0)
	flat_load_dword v0, v[0:1] glc
	s_waitcnt vmcnt(0) lgkmcnt(0)
	buffer_invl2
	buffer_wbinvl1_vol
	v_cmp_eq_u32_e32 vcc, 0, v0
	s_and_b64 vcc, vcc, exec
	s_or_b64 s[54:55], s[54:55], vcc
.LBB0_311:                              ;   in Loop: Header=BB0_309 Depth=2
	s_andn2_b64 s[52:53], s[52:53], exec
	s_and_b64 s[56:57], s[56:57], exec
	s_mov_b64 vcc, -1
	s_or_b64 s[52:53], s[52:53], s[56:57]
	s_and_saveexec_b64 s[56:57], s[54:55]
	s_cbranch_execz .LBB0_308
; %bb.312:                              ;   in Loop: Header=BB0_309 Depth=2
	s_sleep 1
	s_trap 2
	ds_read_b64 v[0:1], v0
	s_andn2_b64 s[52:53], s[52:53], exec
	s_waitcnt lgkmcnt(0)
	v_cmp_ge_u64_e32 vcc, v[0:1], v[40:41]
	s_orn2_b64 vcc, vcc, exec
	s_branch .LBB0_308
.LBB0_313:                              ;   in Loop: Header=BB0_63 Depth=1
	s_or_b64 exec, exec, s[48:49]
	s_and_saveexec_b64 vcc, s[50:51]
	s_xor_b64 vcc, exec, vcc
	s_cbranch_execz .LBB0_315
; %bb.314:                              ;   in Loop: Header=BB0_63 Depth=1
	v_mov_b32_e32 v0, 1
	ds_write_b32 v0, v0
	s_trap 2
.LBB0_315:                              ;   in Loop: Header=BB0_63 Depth=1
	s_or_b64 exec, exec, s[46:47]
	;;#ASMSTART
	s_wakeup
	;;#ASMEND
.LBB0_316:                              ;   in Loop: Header=BB0_63 Depth=1
	s_or_b64 exec, exec, s[44:45]
.LBB0_317:                              ;   in Loop: Header=BB0_63 Depth=1
	s_andn2_saveexec_b64 vcc, s[42:43]
	s_cbranch_execz .LBB0_319
; %bb.318:                              ;   in Loop: Header=BB0_63 Depth=1
	s_waitcnt vmcnt(0) lgkmcnt(0)
	buffer_wbinvl1_vol
	s_barrier
.LBB0_319:                              ;   in Loop: Header=BB0_63 Depth=1
	s_or_b64 exec, exec, vcc
.LBB0_320:                              ;   in Loop: Header=BB0_63 Depth=1
	s_or_b64 exec, exec, s[20:21]
	v_sub_u32_e32 v25, v10, v42
	v_cmp_lt_i32_e32 vcc, 0, v25
	v_and_b32_e32 v1, 7, v32
	v_mov_b32_e32 v0, v22
	s_and_saveexec_b64 s[20:21], vcc
	s_cbranch_execz .LBB0_328
; %bb.321:                              ;   in Loop: Header=BB0_63 Depth=1
	v_mul_lo_u32 v12, v1, v62
	v_ashrrev_i32_e32 v13, 31, v12
	v_mov_b32_e32 v11, v32
	v_add_co_u32_e64 v28, vcc, 0, 0
	v_addc_co_u32_e32 v11, vcc, 1, v11, vcc
	v_lshlrev_b64 v[12:13], 4, v[12:13]
	v_accvgpr_read_b32 v0, a21
	v_add_co_u32_e32 v14, vcc, v0, v12
	v_accvgpr_read_b32 v0, a22
	v_addc_co_u32_e32 v15, vcc, v0, v13, vcc
	s_mov_b64 s[42:43], 0
	v_mov_b32_e32 v29, v3
	v_pk_mov_b32 v[16:17], v[58:59], v[58:59] op_sel:[0,1]
	v_mov_b32_e32 v0, v22
	s_branch .LBB0_323
.LBB0_322:                              ;   in Loop: Header=BB0_323 Depth=2
	s_or_b64 exec, exec, s[44:45]
	v_add_co_u32_e32 v16, vcc, v16, v44
	s_waitcnt vmcnt(0)
	v_alignbit_b32 v10, v36, v10, v29
	v_alignbit_b32 v12, v31, v36, v29
	v_sub_u32_e32 v25, v25, v44
	v_addc_co_u32_e32 v17, vcc, v17, v45, vcc
	v_or_b32_e32 v10, v28, v10
	v_or_b32_e32 v12, v28, v12
	v_mov_b32_e32 v13, v11
	v_cmp_gt_i32_e32 vcc, 1, v25
	global_store_dwordx4 v[14:15], v[10:13], off
	s_or_b64 s[42:43], vcc, s[42:43]
	v_add_co_u32_e32 v14, vcc, v14, v46
	v_add_u32_e32 v0, v0, v2
	v_add_u32_e32 v29, v29, v24
	v_addc_co_u32_e32 v15, vcc, v15, v47, vcc
	s_andn2_b64 exec, exec, s[42:43]
	s_cbranch_execz .LBB0_327
.LBB0_323:                              ;   Parent Loop BB0_63 Depth=1
                                        ; =>  This Inner Loop Header: Depth=2
	v_and_b32_e32 v12, -4, v16
	v_mov_b32_e32 v13, v17
	global_load_dword v10, v[12:13], off glc slc
	v_min_u32_e32 v18, 8, v25
	v_and_b32_e32 v19, 3, v16
	v_add_co_u32_e32 v20, vcc, v19, v18
	v_addc_co_u32_e64 v21, vcc, 0, 0, vcc
	v_mov_b32_e32 v31, 0
	v_cmp_lt_u64_e32 vcc, 4, v[20:21]
	v_mov_b32_e32 v36, 0
	s_and_saveexec_b64 s[44:45], vcc
	s_cbranch_execz .LBB0_325
; %bb.324:                              ;   in Loop: Header=BB0_323 Depth=2
	global_load_dword v36, v[12:13], off offset:4 glc slc
.LBB0_325:                              ;   in Loop: Header=BB0_323 Depth=2
	s_or_b64 exec, exec, s[44:45]
	v_cmp_lt_u64_e32 vcc, 8, v[20:21]
	s_and_saveexec_b64 s[44:45], vcc
	s_cbranch_execz .LBB0_322
; %bb.326:                              ;   in Loop: Header=BB0_323 Depth=2
	global_load_dword v31, v[12:13], off offset:8 glc slc
	s_branch .LBB0_322
.LBB0_327:                              ;   in Loop: Header=BB0_63 Depth=1
	s_or_b64 exec, exec, s[42:43]
	v_accvgpr_read_b32 v19, a15
	v_accvgpr_read_b32 v18, a14
	;; [unrolled: 1-line block ×3, first 2 shown]
.LBB0_328:                              ;   in Loop: Header=BB0_63 Depth=1
	s_or_b64 exec, exec, s[20:21]
	v_and_b32_e32 v52, 0x7ffffff8, v32
	v_cmp_eq_u64_e32 vcc, s[36:37], v[52:53]
	v_cmp_gt_i32_e64 s[20:21], v62, v0
	s_and_b64 s[20:21], vcc, s[20:21]
	s_and_saveexec_b64 s[42:43], s[20:21]
	s_cbranch_execz .LBB0_60
; %bb.329:                              ;   in Loop: Header=BB0_63 Depth=1
	v_mul_lo_u32 v12, v1, v62
	v_mov_b32_e32 v1, v32
	v_add_co_u32_e64 v10, vcc, 0, 0
	v_ashrrev_i32_e32 v13, 31, v12
	v_addc_co_u32_e32 v11, vcc, 1, v1, vcc
	v_ashrrev_i32_e32 v1, 31, v0
	v_lshlrev_b64 v[14:15], 4, v[0:1]
	v_lshlrev_b64 v[12:13], 4, v[12:13]
	v_add_co_u32_e32 v1, vcc, v14, v12
	v_addc_co_u32_e32 v12, vcc, v15, v13, vcc
	v_accvgpr_read_b32 v15, a11
	v_accvgpr_read_b32 v14, a10
	v_add_co_u32_e32 v14, vcc, v14, v1
	v_addc_co_u32_e32 v15, vcc, v15, v12, vcc
	s_mov_b64 s[44:45], 0
.LBB0_330:                              ;   Parent Loop BB0_63 Depth=1
                                        ; =>  This Inner Loop Header: Depth=2
	v_mov_b32_e32 v12, v10
	v_mov_b32_e32 v13, v11
	v_add_u32_e32 v0, v0, v2
	global_store_dwordx4 v[14:15], v[10:13], off
	v_cmp_ge_i32_e32 vcc, v0, v62
	v_add_co_u32_e64 v14, s[20:21], v14, v46
	s_or_b64 s[44:45], vcc, s[44:45]
	v_addc_co_u32_e64 v15, vcc, v15, v47, s[20:21]
	s_andn2_b64 exec, exec, s[44:45]
	s_cbranch_execnz .LBB0_330
	s_branch .LBB0_60
.LBB0_331:
	s_or_b64 exec, exec, s[28:29]
	v_accvgpr_read_b32 v19, a5
	v_accvgpr_read_b32 v25, a7
	;; [unrolled: 1-line block ×6, first 2 shown]
	s_or_b64 exec, exec, s[26:27]
	s_and_saveexec_b64 s[6:7], s[24:25]
	s_cbranch_execz .LBB0_57
.LBB0_332:
	s_waitcnt lgkmcnt(0)
	flat_store_dwordx2 v[24:25], v[34:35] offset:104
	s_or_b64 exec, exec, s[6:7]
	s_and_saveexec_b64 s[6:7], s[4:5]
	s_cbranch_execz .LBB0_58
.LBB0_333:
	s_waitcnt lgkmcnt(0)
	flat_store_dwordx2 v[18:19], v[8:9] offset:104
	s_or_b64 exec, exec, s[6:7]
	v_cmp_ne_u32_e32 vcc, 64, v2
	s_and_saveexec_b64 s[4:5], vcc
	s_cbranch_execz .LBB0_351
.LBB0_334:
	v_cmp_ne_u32_sdwa s[6:7], v2, v17 src0_sel:DWORD src1_sel:WORD_0
	s_and_saveexec_b64 s[8:9], s[6:7]
	s_xor_b64 s[6:7], exec, s[8:9]
	s_cbranch_execz .LBB0_349
; %bb.335:
	v_and_b32_e32 v0, 63, v31
	v_cmp_eq_u32_e32 vcc, 0, v0
	s_and_saveexec_b64 s[8:9], vcc
	s_cbranch_execz .LBB0_348
; %bb.336:
	s_mov_b64 s[12:13], exec
	v_mbcnt_lo_u32_b32 v0, s12, 0
	v_mbcnt_hi_u32_b32 v0, s13, v0
	v_cmp_eq_u32_e32 vcc, 0, v0
	s_waitcnt vmcnt(0) lgkmcnt(0)
	buffer_wbinvl1_vol
	s_and_saveexec_b64 s[10:11], vcc
	s_cbranch_execz .LBB0_338
; %bb.337:
	s_bcnt1_i32_b64 s12, s[12:13]
	v_mov_b32_e32 v0, s12
	v_mov_b32_e32 v1, 0
	ds_add_u64 v0, v[0:1]
	s_trap 2
.LBB0_338:
	s_or_b64 exec, exec, s[10:11]
	v_ashrrev_i32_e32 v0, 31, v2
	v_lshrrev_b32_e32 v0, 26, v0
	v_add_u32_e32 v0, v2, v0
	v_ashrrev_i32_e32 v0, 6, v0
	s_trap 2
	ds_read_b64 v[2:3], v0
	v_ashrrev_i32_e32 v1, 31, v0
	v_add_co_u32_e32 v0, vcc, v40, v0
	v_addc_co_u32_e32 v1, vcc, v41, v1, vcc
	s_waitcnt lgkmcnt(0)
	v_cmp_lt_u64_e32 vcc, v[2:3], v[0:1]
	s_and_saveexec_b64 s[10:11], vcc
	s_cbranch_execz .LBB0_347
; %bb.339:
	s_mov_b32 s26, 0
	s_mov_b64 s[12:13], 0
                                        ; implicit-def: $sgpr14_sgpr15
                                        ; implicit-def: $sgpr16_sgpr17
	s_branch .LBB0_341
.LBB0_340:                              ;   in Loop: Header=BB0_341 Depth=1
	s_or_b64 exec, exec, s[24:25]
	s_and_b64 s[18:19], exec, s[20:21]
	s_or_b64 s[12:13], s[18:19], s[12:13]
	s_andn2_b64 s[14:15], s[14:15], exec
	s_and_b64 s[18:19], s[16:17], exec
	s_or_b64 s[14:15], s[14:15], s[18:19]
	s_andn2_b64 exec, exec, s[12:13]
	s_cbranch_execz .LBB0_345
.LBB0_341:                              ; =>This Inner Loop Header: Depth=1
	s_add_i32 s26, s26, 1
	s_cmpk_lg_i32 s26, 0x2710
	s_cselect_b64 s[18:19], -1, 0
	s_and_b64 vcc, exec, s[18:19]
                                        ; implicit-def: $sgpr24_sgpr25
	s_cbranch_vccnz .LBB0_343
; %bb.342:                              ;   in Loop: Header=BB0_341 Depth=1
	s_trap 2
	ds_read_b64 v[2:3], v0
	s_andn2_b64 s[18:19], s[18:19], exec
	s_mov_b32 s26, 0
	s_mov_b64 s[24:25], -1
	s_waitcnt lgkmcnt(0)
	flat_load_dword v2, v[2:3] glc
	s_waitcnt vmcnt(0) lgkmcnt(0)
	buffer_invl2
	buffer_wbinvl1_vol
	v_cmp_eq_u32_e32 vcc, 0, v2
	s_and_b64 s[20:21], vcc, exec
	s_or_b64 s[18:19], s[18:19], s[20:21]
.LBB0_343:                              ;   in Loop: Header=BB0_341 Depth=1
	s_andn2_b64 s[16:17], s[16:17], exec
	s_and_b64 s[24:25], s[24:25], exec
	s_mov_b64 s[20:21], -1
	s_or_b64 s[16:17], s[16:17], s[24:25]
	s_and_saveexec_b64 s[24:25], s[18:19]
	s_cbranch_execz .LBB0_340
; %bb.344:                              ;   in Loop: Header=BB0_341 Depth=1
	s_sleep 1
	s_trap 2
	ds_read_b64 v[2:3], v0
	s_andn2_b64 s[16:17], s[16:17], exec
	s_waitcnt lgkmcnt(0)
	v_cmp_ge_u64_e32 vcc, v[2:3], v[0:1]
	s_orn2_b64 s[20:21], vcc, exec
	s_branch .LBB0_340
.LBB0_345:
	s_or_b64 exec, exec, s[12:13]
	s_and_saveexec_b64 s[12:13], s[14:15]
	s_xor_b64 s[12:13], exec, s[12:13]
	s_cbranch_execz .LBB0_347
; %bb.346:
	v_mov_b32_e32 v0, 1
	ds_write_b32 v0, v0
	s_trap 2
.LBB0_347:
	s_or_b64 exec, exec, s[10:11]
	;;#ASMSTART
	s_wakeup
	;;#ASMEND
.LBB0_348:
	s_or_b64 exec, exec, s[8:9]
.LBB0_349:
	s_andn2_saveexec_b64 s[6:7], s[6:7]
	s_cbranch_execz .LBB0_351
; %bb.350:
	s_waitcnt vmcnt(0) lgkmcnt(0)
	buffer_wbinvl1_vol
	s_barrier
.LBB0_351:
	s_or_b64 exec, exec, s[4:5]
.LBB0_352:
	s_or_b64 exec, exec, s[22:23]
	buffer_load_dword v62, off, s[0:3], s32 ; 4-byte Folded Reload
	buffer_load_dword v61, off, s[0:3], s32 offset:4 ; 4-byte Folded Reload
	buffer_load_dword v60, off, s[0:3], s32 offset:8 ; 4-byte Folded Reload
	;; [unrolled: 1-line block ×5, first 2 shown]
	v_readlane_b32 s30, v63, 26
	v_readlane_b32 s31, v63, 27
	;; [unrolled: 1-line block ×28, first 2 shown]
	v_accvgpr_read_b32 v56, a31             ;  Reload Reuse
	v_accvgpr_read_b32 v47, a30             ;  Reload Reuse
	;; [unrolled: 1-line block ×9, first 2 shown]
	s_or_saveexec_b64 s[4:5], -1
	buffer_load_dword v63, off, s[0:3], s32 offset:24 ; 4-byte Folded Reload
	s_mov_b64 exec, s[4:5]
	s_waitcnt vmcnt(0) lgkmcnt(0)
	s_setpc_b64 s[30:31]
.Lfunc_end0:
	.size	_ZN12_GLOBAL__N_17runRingIa7FuncSumIaE7ProtoLLLi0ELi1ELi0EEEviiP15ncclDevWorkColl, .Lfunc_end0-_ZN12_GLOBAL__N_17runRingIa7FuncSumIaE7ProtoLLLi0ELi1ELi0EEEviiP15ncclDevWorkColl
                                        ; -- End function
	.section	.AMDGPU.csdata,"",@progbits
; Function info:
; codeLenInByte = 11324
; NumSgprs: 64
; NumVgprs: 64
; NumAgprs: 32
; TotalNumVgprs: 96
; ScratchSize: 32
; MemoryBound: 1
	.text
	.p2align	2                               ; -- Begin function _Z42ncclDevFunc_Broadcast_RING_LL_Sum_i8_0_0_1v
	.type	_Z42ncclDevFunc_Broadcast_RING_LL_Sum_i8_0_0_1v,@function
_Z42ncclDevFunc_Broadcast_RING_LL_Sum_i8_0_0_1v: ; @_Z42ncclDevFunc_Broadcast_RING_LL_Sum_i8_0_0_1v
; %bb.0:
	s_waitcnt vmcnt(0) expcnt(0) lgkmcnt(0)
	s_mov_b32 s4, s33
	s_mov_b32 s33, s32
	s_or_saveexec_b64 s[6:7], -1
	buffer_store_dword v43, off, s[0:3], s33 offset:16 ; 4-byte Folded Spill
	s_mov_b64 exec, s[6:7]
	v_writelane_b32 v43, s4, 36
	s_addk_i32 s32, 0x800
	buffer_store_dword v40, off, s[0:3], s33 offset:12 ; 4-byte Folded Spill
	buffer_store_dword v41, off, s[0:3], s33 offset:8 ; 4-byte Folded Spill
	;; [unrolled: 1-line block ×3, first 2 shown]
	buffer_store_dword v63, off, s[0:3], s33 ; 4-byte Folded Spill
	v_writelane_b32 v43, s34, 0
	v_writelane_b32 v43, s35, 1
	;; [unrolled: 1-line block ×36, first 2 shown]
	s_trap 2
	ds_read_b32 v0, v0
	v_mov_b32_e32 v40, v31
	s_mov_b32 s62, s12
	s_mov_b64 s[60:61], s[8:9]
	s_waitcnt lgkmcnt(0)
	v_cmp_gt_i32_e32 vcc, 1, v0
	s_cbranch_vccnz .LBB1_8
; %bb.1:
	s_mov_b32 s63, 0
	v_and_b32_e32 v41, 0x3ff, v40
	s_mov_b64 s[64:65], src_shared_base
	v_mov_b32_e32 v42, 6
	s_branch .LBB1_3
.LBB1_2:                                ;   in Loop: Header=BB1_3 Depth=1
	s_or_b64 exec, exec, s[66:67]
	s_trap 2
	ds_read_b32 v0, v0
	s_add_i32 s63, s63, 1
	s_waitcnt lgkmcnt(0)
	v_cmp_lt_i32_e32 vcc, s63, v0
	s_cbranch_vccz .LBB1_8
.LBB1_3:                                ; =>This Inner Loop Header: Depth=1
	s_trap 2
	ds_read_b32 v0, v0
	s_cmp_eq_u32 s63, 0
	s_cbranch_scc1 .LBB1_6
; %bb.4:                                ;   in Loop: Header=BB1_3 Depth=1
	s_trap 2
	s_waitcnt lgkmcnt(0)
	ds_read_b32 v1, v0
	s_waitcnt lgkmcnt(0)
	v_xor_b32_e32 v1, v1, v0
	v_and_b32_e32 v1, 0xff0000, v1
	v_cmp_eq_u32_e32 vcc, 0, v1
	s_cbranch_vccnz .LBB1_6
; %bb.5:                                ;   in Loop: Header=BB1_3 Depth=1
	s_barrier
	ds_read_b32 v0, v0
.LBB1_6:                                ;   in Loop: Header=BB1_3 Depth=1
	s_waitcnt lgkmcnt(0)
	v_lshlrev_b32_sdwa v1, v42, v0 dst_sel:DWORD dst_unused:UNUSED_PAD src0_sel:DWORD src1_sel:BYTE_2
	v_cmp_lt_u32_e32 vcc, v41, v1
	s_and_saveexec_b64 s[66:67], vcc
	s_cbranch_execz .LBB1_2
; %bb.7:                                ;   in Loop: Header=BB1_3 Depth=1
	s_mov_b64 s[8:9], s[60:61]
	s_mov_b32 s12, s62
	v_mov_b32_e32 v31, v40
	v_mov_b32_e32 v0, v41
	;; [unrolled: 1-line block ×3, first 2 shown]
	s_getpc_b64 s[4:5]
	s_add_u32 s4, s4, _ZN12_GLOBAL__N_17runRingIa7FuncSumIaE7ProtoLLLi0ELi1ELi0EEEviiP15ncclDevWorkColl@rel32@lo+4
	s_addc_u32 s5, s5, _ZN12_GLOBAL__N_17runRingIa7FuncSumIaE7ProtoLLLi0ELi1ELi0EEEviiP15ncclDevWorkColl@rel32@hi+12
	s_swappc_b64 s[30:31], s[4:5]
	s_branch .LBB1_2
.LBB1_8:
	buffer_load_dword v63, off, s[0:3], s33 ; 4-byte Folded Reload
	buffer_load_dword v42, off, s[0:3], s33 offset:4 ; 4-byte Folded Reload
	buffer_load_dword v41, off, s[0:3], s33 offset:8 ; 4-byte Folded Reload
	;; [unrolled: 1-line block ×3, first 2 shown]
	v_readlane_b32 s30, v43, 34
	v_readlane_b32 s31, v43, 35
	;; [unrolled: 1-line block ×37, first 2 shown]
	s_or_saveexec_b64 s[6:7], -1
	buffer_load_dword v43, off, s[0:3], s33 offset:16 ; 4-byte Folded Reload
	s_mov_b64 exec, s[6:7]
	s_addk_i32 s32, 0xf800
	s_mov_b32 s33, s4
	s_waitcnt vmcnt(0)
	s_setpc_b64 s[30:31]
.Lfunc_end1:
	.size	_Z42ncclDevFunc_Broadcast_RING_LL_Sum_i8_0_0_1v, .Lfunc_end1-_Z42ncclDevFunc_Broadcast_RING_LL_Sum_i8_0_0_1v
                                        ; -- End function
	.section	.AMDGPU.csdata,"",@progbits
; Function info:
; codeLenInByte = 956
; NumSgprs: 72
; NumVgprs: 64
; NumAgprs: 32
; TotalNumVgprs: 96
; ScratchSize: 64
; MemoryBound: 0
	.text
	.p2align	2                               ; -- Begin function __ockl_fprintf_append_string_n
	.type	__ockl_fprintf_append_string_n,@function
__ockl_fprintf_append_string_n:         ; @__ockl_fprintf_append_string_n
; %bb.0:
	s_waitcnt vmcnt(0) expcnt(0) lgkmcnt(0)
	v_mov_b32_e32 v9, v3
	v_mov_b32_e32 v8, v2
	v_or_b32_e32 v2, 2, v0
	v_cmp_eq_u32_e32 vcc, 0, v6
	s_mov_b32 s22, 0
	v_cndmask_b32_e32 v0, v2, v0, vcc
	s_mov_b64 s[6:7], 0
	v_cmp_ne_u64_e32 vcc, 0, v[8:9]
	v_mbcnt_lo_u32_b32 v2, -1, 0
	s_and_saveexec_b64 s[4:5], vcc
	s_xor_b64 s[10:11], exec, s[4:5]
	s_cbranch_execz .LBB2_86
; %bb.1:
	s_load_dwordx2 s[12:13], s[8:9], 0x50
	v_and_b32_e32 v6, 2, v0
	v_mov_b32_e32 v31, 0
	v_and_b32_e32 v0, -3, v0
	v_mbcnt_hi_u32_b32 v32, -1, v2
	s_movk_i32 s23, 0xff1f
	v_mov_b32_e32 v12, 2
	v_mov_b32_e32 v13, 1
	s_branch .LBB2_3
.LBB2_2:                                ;   in Loop: Header=BB2_3 Depth=1
	s_or_b64 exec, exec, s[16:17]
	v_sub_co_u32_e32 v4, vcc, v4, v34
	v_subb_co_u32_e32 v5, vcc, v5, v35, vcc
	v_cmp_eq_u64_e32 vcc, 0, v[4:5]
	s_or_b64 s[6:7], vcc, s[6:7]
	v_add_co_u32_e32 v8, vcc, v8, v34
	v_addc_co_u32_e32 v9, vcc, v9, v35, vcc
	s_andn2_b64 exec, exec, s[6:7]
	s_cbranch_execz .LBB2_85
.LBB2_3:                                ; =>This Loop Header: Depth=1
                                        ;     Child Loop BB2_6 Depth 2
                                        ;     Child Loop BB2_14 Depth 2
	;; [unrolled: 1-line block ×11, first 2 shown]
	v_cmp_gt_u64_e32 vcc, 56, v[4:5]
	v_cndmask_b32_e32 v35, 0, v5, vcc
	v_cndmask_b32_e32 v34, 56, v4, vcc
	v_cmp_gt_u64_e32 vcc, 8, v[4:5]
                                        ; implicit-def: $vgpr2_vgpr3
                                        ; implicit-def: $sgpr14
	s_and_saveexec_b64 s[4:5], vcc
	s_xor_b64 s[4:5], exec, s[4:5]
	s_cbranch_execz .LBB2_9
; %bb.4:                                ;   in Loop: Header=BB2_3 Depth=1
	s_mov_b64 s[16:17], 0
	v_cmp_ne_u64_e32 vcc, 0, v[4:5]
	s_waitcnt vmcnt(0)
	v_pk_mov_b32 v[2:3], 0, 0
	s_and_saveexec_b64 s[14:15], vcc
	s_cbranch_execz .LBB2_8
; %bb.5:                                ;   in Loop: Header=BB2_3 Depth=1
	v_lshlrev_b64 v[10:11], 3, v[34:35]
	v_pk_mov_b32 v[2:3], 0, 0
	v_pk_mov_b32 v[14:15], v[8:9], v[8:9] op_sel:[0,1]
	s_mov_b64 s[18:19], 0
.LBB2_6:                                ;   Parent Loop BB2_3 Depth=1
                                        ; =>  This Inner Loop Header: Depth=2
	flat_load_ubyte v7, v[14:15]
	v_mov_b32_e32 v17, s22
	v_add_co_u32_e32 v14, vcc, 1, v14
	v_addc_co_u32_e32 v15, vcc, 0, v15, vcc
	s_waitcnt vmcnt(0) lgkmcnt(0)
	v_and_b32_e32 v16, 0xffff, v7
	v_lshlrev_b64 v[16:17], s18, v[16:17]
	s_add_u32 s18, s18, 8
	s_addc_u32 s19, s19, 0
	v_cmp_eq_u32_e32 vcc, s18, v10
	v_or_b32_e32 v3, v17, v3
	s_or_b64 s[16:17], vcc, s[16:17]
	v_or_b32_e32 v2, v16, v2
	s_andn2_b64 exec, exec, s[16:17]
	s_cbranch_execnz .LBB2_6
; %bb.7:                                ;   in Loop: Header=BB2_3 Depth=1
	s_or_b64 exec, exec, s[16:17]
.LBB2_8:                                ;   in Loop: Header=BB2_3 Depth=1
	s_or_b64 exec, exec, s[14:15]
	s_mov_b32 s14, 0
.LBB2_9:                                ;   in Loop: Header=BB2_3 Depth=1
	s_or_saveexec_b64 s[4:5], s[4:5]
	v_mov_b32_e32 v7, s14
	v_pk_mov_b32 v[10:11], v[8:9], v[8:9] op_sel:[0,1]
	s_xor_b64 exec, exec, s[4:5]
	s_cbranch_execz .LBB2_11
; %bb.10:                               ;   in Loop: Header=BB2_3 Depth=1
	s_waitcnt vmcnt(0)
	flat_load_dwordx2 v[2:3], v[8:9]
	v_add_u32_e32 v7, -8, v34
	s_waitcnt vmcnt(0) lgkmcnt(0)
	v_and_b32_e32 v10, 0xff, v3
	v_and_b32_e32 v11, 0xff00, v3
	;; [unrolled: 1-line block ×4, first 2 shown]
	v_or_b32_e32 v10, v10, v11
	v_or3_b32 v3, v10, v14, v3
	v_add_co_u32_e32 v10, vcc, 8, v8
	v_or3_b32 v2, v2, 0, 0
	v_addc_co_u32_e32 v11, vcc, 0, v9, vcc
.LBB2_11:                               ;   in Loop: Header=BB2_3 Depth=1
	s_or_b64 exec, exec, s[4:5]
	v_cmp_gt_u32_e32 vcc, 8, v7
                                        ; implicit-def: $vgpr14_vgpr15
                                        ; implicit-def: $sgpr14
	s_and_saveexec_b64 s[4:5], vcc
	s_xor_b64 s[4:5], exec, s[4:5]
	s_cbranch_execz .LBB2_17
; %bb.12:                               ;   in Loop: Header=BB2_3 Depth=1
	v_cmp_ne_u32_e32 vcc, 0, v7
	v_pk_mov_b32 v[14:15], 0, 0
	s_and_saveexec_b64 s[14:15], vcc
	s_cbranch_execz .LBB2_16
; %bb.13:                               ;   in Loop: Header=BB2_3 Depth=1
	s_mov_b64 s[16:17], 0
	v_pk_mov_b32 v[14:15], 0, 0
	s_mov_b64 s[18:19], 0
	s_mov_b64 s[20:21], 0
.LBB2_14:                               ;   Parent Loop BB2_3 Depth=1
                                        ; =>  This Inner Loop Header: Depth=2
	v_mov_b32_e32 v17, s21
	v_add_co_u32_e32 v16, vcc, s20, v10
	v_addc_co_u32_e32 v17, vcc, v11, v17, vcc
	flat_load_ubyte v16, v[16:17]
	s_add_u32 s20, s20, 1
	v_mov_b32_e32 v17, s22
	s_addc_u32 s21, s21, 0
	v_cmp_eq_u32_e32 vcc, s20, v7
	s_waitcnt vmcnt(0) lgkmcnt(0)
	v_and_b32_e32 v16, 0xffff, v16
	v_lshlrev_b64 v[16:17], s18, v[16:17]
	s_add_u32 s18, s18, 8
	s_addc_u32 s19, s19, 0
	v_or_b32_e32 v15, v17, v15
	s_or_b64 s[16:17], vcc, s[16:17]
	v_or_b32_e32 v14, v16, v14
	s_andn2_b64 exec, exec, s[16:17]
	s_cbranch_execnz .LBB2_14
; %bb.15:                               ;   in Loop: Header=BB2_3 Depth=1
	s_or_b64 exec, exec, s[16:17]
.LBB2_16:                               ;   in Loop: Header=BB2_3 Depth=1
	s_or_b64 exec, exec, s[14:15]
	s_mov_b32 s14, 0
                                        ; implicit-def: $vgpr7
.LBB2_17:                               ;   in Loop: Header=BB2_3 Depth=1
	s_or_saveexec_b64 s[4:5], s[4:5]
	v_mov_b32_e32 v18, s14
	s_xor_b64 exec, exec, s[4:5]
	s_cbranch_execz .LBB2_19
; %bb.18:                               ;   in Loop: Header=BB2_3 Depth=1
	flat_load_dwordx2 v[14:15], v[10:11]
	v_add_u32_e32 v18, -8, v7
	v_add_co_u32_e32 v10, vcc, 8, v10
	v_addc_co_u32_e32 v11, vcc, 0, v11, vcc
	s_waitcnt vmcnt(0) lgkmcnt(0)
	v_and_b32_e32 v7, 0xff, v15
	v_and_b32_e32 v16, 0xff00, v15
	;; [unrolled: 1-line block ×4, first 2 shown]
	v_or_b32_e32 v7, v7, v16
	v_or3_b32 v14, v14, 0, 0
	v_or3_b32 v15, v7, v17, v15
.LBB2_19:                               ;   in Loop: Header=BB2_3 Depth=1
	s_or_b64 exec, exec, s[4:5]
	v_cmp_gt_u32_e32 vcc, 8, v18
                                        ; implicit-def: $sgpr14
	s_and_saveexec_b64 s[4:5], vcc
	s_xor_b64 s[4:5], exec, s[4:5]
	s_cbranch_execz .LBB2_25
; %bb.20:                               ;   in Loop: Header=BB2_3 Depth=1
	v_cmp_ne_u32_e32 vcc, 0, v18
	v_pk_mov_b32 v[16:17], 0, 0
	s_and_saveexec_b64 s[14:15], vcc
	s_cbranch_execz .LBB2_24
; %bb.21:                               ;   in Loop: Header=BB2_3 Depth=1
	s_mov_b64 s[16:17], 0
	v_pk_mov_b32 v[16:17], 0, 0
	s_mov_b64 s[18:19], 0
	s_mov_b64 s[20:21], 0
.LBB2_22:                               ;   Parent Loop BB2_3 Depth=1
                                        ; =>  This Inner Loop Header: Depth=2
	v_mov_b32_e32 v7, s21
	v_add_co_u32_e32 v20, vcc, s20, v10
	v_addc_co_u32_e32 v21, vcc, v11, v7, vcc
	flat_load_ubyte v7, v[20:21]
	s_add_u32 s20, s20, 1
	v_mov_b32_e32 v21, s22
	s_addc_u32 s21, s21, 0
	v_cmp_eq_u32_e32 vcc, s20, v18
	s_waitcnt vmcnt(0) lgkmcnt(0)
	v_and_b32_e32 v20, 0xffff, v7
	v_lshlrev_b64 v[20:21], s18, v[20:21]
	s_add_u32 s18, s18, 8
	s_addc_u32 s19, s19, 0
	v_or_b32_e32 v17, v21, v17
	s_or_b64 s[16:17], vcc, s[16:17]
	v_or_b32_e32 v16, v20, v16
	s_andn2_b64 exec, exec, s[16:17]
	s_cbranch_execnz .LBB2_22
; %bb.23:                               ;   in Loop: Header=BB2_3 Depth=1
	s_or_b64 exec, exec, s[16:17]
.LBB2_24:                               ;   in Loop: Header=BB2_3 Depth=1
	s_or_b64 exec, exec, s[14:15]
	s_mov_b32 s14, 0
                                        ; implicit-def: $vgpr18
.LBB2_25:                               ;   in Loop: Header=BB2_3 Depth=1
	s_or_saveexec_b64 s[4:5], s[4:5]
	v_mov_b32_e32 v7, s14
	s_xor_b64 exec, exec, s[4:5]
	s_cbranch_execz .LBB2_27
; %bb.26:                               ;   in Loop: Header=BB2_3 Depth=1
	flat_load_dwordx2 v[16:17], v[10:11]
	v_add_u32_e32 v7, -8, v18
	v_add_co_u32_e32 v10, vcc, 8, v10
	v_addc_co_u32_e32 v11, vcc, 0, v11, vcc
	s_waitcnt vmcnt(0) lgkmcnt(0)
	v_and_b32_e32 v18, 0xff, v17
	v_and_b32_e32 v19, 0xff00, v17
	;; [unrolled: 1-line block ×4, first 2 shown]
	v_or_b32_e32 v18, v18, v19
	v_or3_b32 v16, v16, 0, 0
	v_or3_b32 v17, v18, v20, v17
.LBB2_27:                               ;   in Loop: Header=BB2_3 Depth=1
	s_or_b64 exec, exec, s[4:5]
	v_cmp_gt_u32_e32 vcc, 8, v7
                                        ; implicit-def: $vgpr18_vgpr19
                                        ; implicit-def: $sgpr14
	s_and_saveexec_b64 s[4:5], vcc
	s_xor_b64 s[4:5], exec, s[4:5]
	s_cbranch_execz .LBB2_33
; %bb.28:                               ;   in Loop: Header=BB2_3 Depth=1
	v_cmp_ne_u32_e32 vcc, 0, v7
	v_pk_mov_b32 v[18:19], 0, 0
	s_and_saveexec_b64 s[14:15], vcc
	s_cbranch_execz .LBB2_32
; %bb.29:                               ;   in Loop: Header=BB2_3 Depth=1
	s_mov_b64 s[16:17], 0
	v_pk_mov_b32 v[18:19], 0, 0
	s_mov_b64 s[18:19], 0
	s_mov_b64 s[20:21], 0
.LBB2_30:                               ;   Parent Loop BB2_3 Depth=1
                                        ; =>  This Inner Loop Header: Depth=2
	v_mov_b32_e32 v21, s21
	v_add_co_u32_e32 v20, vcc, s20, v10
	v_addc_co_u32_e32 v21, vcc, v11, v21, vcc
	flat_load_ubyte v20, v[20:21]
	s_add_u32 s20, s20, 1
	v_mov_b32_e32 v21, s22
	s_addc_u32 s21, s21, 0
	v_cmp_eq_u32_e32 vcc, s20, v7
	s_waitcnt vmcnt(0) lgkmcnt(0)
	v_and_b32_e32 v20, 0xffff, v20
	v_lshlrev_b64 v[20:21], s18, v[20:21]
	s_add_u32 s18, s18, 8
	s_addc_u32 s19, s19, 0
	v_or_b32_e32 v19, v21, v19
	s_or_b64 s[16:17], vcc, s[16:17]
	v_or_b32_e32 v18, v20, v18
	s_andn2_b64 exec, exec, s[16:17]
	s_cbranch_execnz .LBB2_30
; %bb.31:                               ;   in Loop: Header=BB2_3 Depth=1
	s_or_b64 exec, exec, s[16:17]
.LBB2_32:                               ;   in Loop: Header=BB2_3 Depth=1
	s_or_b64 exec, exec, s[14:15]
	s_mov_b32 s14, 0
                                        ; implicit-def: $vgpr7
.LBB2_33:                               ;   in Loop: Header=BB2_3 Depth=1
	s_or_saveexec_b64 s[4:5], s[4:5]
	v_mov_b32_e32 v22, s14
	s_xor_b64 exec, exec, s[4:5]
	s_cbranch_execz .LBB2_35
; %bb.34:                               ;   in Loop: Header=BB2_3 Depth=1
	flat_load_dwordx2 v[18:19], v[10:11]
	v_add_u32_e32 v22, -8, v7
	v_add_co_u32_e32 v10, vcc, 8, v10
	v_addc_co_u32_e32 v11, vcc, 0, v11, vcc
	s_waitcnt vmcnt(0) lgkmcnt(0)
	v_and_b32_e32 v7, 0xff, v19
	v_and_b32_e32 v20, 0xff00, v19
	;; [unrolled: 1-line block ×4, first 2 shown]
	v_or_b32_e32 v7, v7, v20
	v_or3_b32 v18, v18, 0, 0
	v_or3_b32 v19, v7, v21, v19
.LBB2_35:                               ;   in Loop: Header=BB2_3 Depth=1
	s_or_b64 exec, exec, s[4:5]
	v_cmp_gt_u32_e32 vcc, 8, v22
                                        ; implicit-def: $sgpr14
	s_and_saveexec_b64 s[4:5], vcc
	s_xor_b64 s[4:5], exec, s[4:5]
	s_cbranch_execz .LBB2_41
; %bb.36:                               ;   in Loop: Header=BB2_3 Depth=1
	v_cmp_ne_u32_e32 vcc, 0, v22
	v_pk_mov_b32 v[20:21], 0, 0
	s_and_saveexec_b64 s[14:15], vcc
	s_cbranch_execz .LBB2_40
; %bb.37:                               ;   in Loop: Header=BB2_3 Depth=1
	s_mov_b64 s[16:17], 0
	v_pk_mov_b32 v[20:21], 0, 0
	s_mov_b64 s[18:19], 0
	s_mov_b64 s[20:21], 0
.LBB2_38:                               ;   Parent Loop BB2_3 Depth=1
                                        ; =>  This Inner Loop Header: Depth=2
	v_mov_b32_e32 v7, s21
	v_add_co_u32_e32 v24, vcc, s20, v10
	v_addc_co_u32_e32 v25, vcc, v11, v7, vcc
	flat_load_ubyte v7, v[24:25]
	s_add_u32 s20, s20, 1
	v_mov_b32_e32 v25, s22
	s_addc_u32 s21, s21, 0
	v_cmp_eq_u32_e32 vcc, s20, v22
	s_waitcnt vmcnt(0) lgkmcnt(0)
	v_and_b32_e32 v24, 0xffff, v7
	v_lshlrev_b64 v[24:25], s18, v[24:25]
	s_add_u32 s18, s18, 8
	s_addc_u32 s19, s19, 0
	v_or_b32_e32 v21, v25, v21
	s_or_b64 s[16:17], vcc, s[16:17]
	v_or_b32_e32 v20, v24, v20
	s_andn2_b64 exec, exec, s[16:17]
	s_cbranch_execnz .LBB2_38
; %bb.39:                               ;   in Loop: Header=BB2_3 Depth=1
	s_or_b64 exec, exec, s[16:17]
.LBB2_40:                               ;   in Loop: Header=BB2_3 Depth=1
	s_or_b64 exec, exec, s[14:15]
	s_mov_b32 s14, 0
                                        ; implicit-def: $vgpr22
.LBB2_41:                               ;   in Loop: Header=BB2_3 Depth=1
	s_or_saveexec_b64 s[4:5], s[4:5]
	v_mov_b32_e32 v7, s14
	s_xor_b64 exec, exec, s[4:5]
	s_cbranch_execz .LBB2_43
; %bb.42:                               ;   in Loop: Header=BB2_3 Depth=1
	flat_load_dwordx2 v[20:21], v[10:11]
	v_add_u32_e32 v7, -8, v22
	v_add_co_u32_e32 v10, vcc, 8, v10
	v_addc_co_u32_e32 v11, vcc, 0, v11, vcc
	s_waitcnt vmcnt(0) lgkmcnt(0)
	v_and_b32_e32 v22, 0xff, v21
	v_and_b32_e32 v23, 0xff00, v21
	;; [unrolled: 1-line block ×4, first 2 shown]
	v_or_b32_e32 v22, v22, v23
	v_or3_b32 v20, v20, 0, 0
	v_or3_b32 v21, v22, v24, v21
.LBB2_43:                               ;   in Loop: Header=BB2_3 Depth=1
	s_or_b64 exec, exec, s[4:5]
	v_cmp_gt_u32_e32 vcc, 8, v7
                                        ; implicit-def: $vgpr22_vgpr23
                                        ; implicit-def: $sgpr14
	s_and_saveexec_b64 s[4:5], vcc
	s_xor_b64 s[4:5], exec, s[4:5]
	s_cbranch_execz .LBB2_49
; %bb.44:                               ;   in Loop: Header=BB2_3 Depth=1
	v_cmp_ne_u32_e32 vcc, 0, v7
	v_pk_mov_b32 v[22:23], 0, 0
	s_and_saveexec_b64 s[14:15], vcc
	s_cbranch_execz .LBB2_48
; %bb.45:                               ;   in Loop: Header=BB2_3 Depth=1
	s_mov_b64 s[16:17], 0
	v_pk_mov_b32 v[22:23], 0, 0
	s_mov_b64 s[18:19], 0
	s_mov_b64 s[20:21], 0
.LBB2_46:                               ;   Parent Loop BB2_3 Depth=1
                                        ; =>  This Inner Loop Header: Depth=2
	v_mov_b32_e32 v25, s21
	v_add_co_u32_e32 v24, vcc, s20, v10
	v_addc_co_u32_e32 v25, vcc, v11, v25, vcc
	flat_load_ubyte v24, v[24:25]
	s_add_u32 s20, s20, 1
	v_mov_b32_e32 v25, s22
	s_addc_u32 s21, s21, 0
	v_cmp_eq_u32_e32 vcc, s20, v7
	s_waitcnt vmcnt(0) lgkmcnt(0)
	v_and_b32_e32 v24, 0xffff, v24
	v_lshlrev_b64 v[24:25], s18, v[24:25]
	s_add_u32 s18, s18, 8
	s_addc_u32 s19, s19, 0
	v_or_b32_e32 v23, v25, v23
	s_or_b64 s[16:17], vcc, s[16:17]
	v_or_b32_e32 v22, v24, v22
	s_andn2_b64 exec, exec, s[16:17]
	s_cbranch_execnz .LBB2_46
; %bb.47:                               ;   in Loop: Header=BB2_3 Depth=1
	s_or_b64 exec, exec, s[16:17]
.LBB2_48:                               ;   in Loop: Header=BB2_3 Depth=1
	s_or_b64 exec, exec, s[14:15]
	s_mov_b32 s14, 0
                                        ; implicit-def: $vgpr7
.LBB2_49:                               ;   in Loop: Header=BB2_3 Depth=1
	s_or_saveexec_b64 s[4:5], s[4:5]
	v_mov_b32_e32 v26, s14
	s_xor_b64 exec, exec, s[4:5]
	s_cbranch_execz .LBB2_51
; %bb.50:                               ;   in Loop: Header=BB2_3 Depth=1
	flat_load_dwordx2 v[22:23], v[10:11]
	v_add_u32_e32 v26, -8, v7
	v_add_co_u32_e32 v10, vcc, 8, v10
	v_addc_co_u32_e32 v11, vcc, 0, v11, vcc
	s_waitcnt vmcnt(0) lgkmcnt(0)
	v_and_b32_e32 v7, 0xff, v23
	v_and_b32_e32 v24, 0xff00, v23
	;; [unrolled: 1-line block ×4, first 2 shown]
	v_or_b32_e32 v7, v7, v24
	v_or3_b32 v22, v22, 0, 0
	v_or3_b32 v23, v7, v25, v23
.LBB2_51:                               ;   in Loop: Header=BB2_3 Depth=1
	s_or_b64 exec, exec, s[4:5]
	v_cmp_gt_u32_e32 vcc, 8, v26
	s_and_saveexec_b64 s[4:5], vcc
	s_xor_b64 s[4:5], exec, s[4:5]
	s_cbranch_execz .LBB2_57
; %bb.52:                               ;   in Loop: Header=BB2_3 Depth=1
	v_cmp_ne_u32_e32 vcc, 0, v26
	v_pk_mov_b32 v[24:25], 0, 0
	s_and_saveexec_b64 s[14:15], vcc
	s_cbranch_execz .LBB2_56
; %bb.53:                               ;   in Loop: Header=BB2_3 Depth=1
	s_mov_b64 s[16:17], 0
	v_pk_mov_b32 v[24:25], 0, 0
	s_mov_b64 s[18:19], 0
.LBB2_54:                               ;   Parent Loop BB2_3 Depth=1
                                        ; =>  This Inner Loop Header: Depth=2
	flat_load_ubyte v7, v[10:11]
	v_mov_b32_e32 v29, s22
	v_add_co_u32_e32 v10, vcc, 1, v10
	v_add_u32_e32 v26, -1, v26
	v_addc_co_u32_e32 v11, vcc, 0, v11, vcc
	v_cmp_eq_u32_e32 vcc, 0, v26
	s_waitcnt vmcnt(0) lgkmcnt(0)
	v_and_b32_e32 v28, 0xffff, v7
	v_lshlrev_b64 v[28:29], s18, v[28:29]
	s_add_u32 s18, s18, 8
	s_addc_u32 s19, s19, 0
	v_or_b32_e32 v25, v29, v25
	s_or_b64 s[16:17], vcc, s[16:17]
	v_or_b32_e32 v24, v28, v24
	s_andn2_b64 exec, exec, s[16:17]
	s_cbranch_execnz .LBB2_54
; %bb.55:                               ;   in Loop: Header=BB2_3 Depth=1
	s_or_b64 exec, exec, s[16:17]
.LBB2_56:                               ;   in Loop: Header=BB2_3 Depth=1
	s_or_b64 exec, exec, s[14:15]
                                        ; implicit-def: $vgpr10_vgpr11
.LBB2_57:                               ;   in Loop: Header=BB2_3 Depth=1
	s_andn2_saveexec_b64 s[4:5], s[4:5]
	s_cbranch_execz .LBB2_59
; %bb.58:                               ;   in Loop: Header=BB2_3 Depth=1
	flat_load_dwordx2 v[10:11], v[10:11]
	s_waitcnt vmcnt(0) lgkmcnt(0)
	v_and_b32_e32 v7, 0xff, v11
	v_and_b32_e32 v24, 0xff00, v11
	;; [unrolled: 1-line block ×4, first 2 shown]
	v_or_b32_e32 v7, v7, v24
	v_or3_b32 v25, v7, v25, v11
	v_or3_b32 v24, v10, 0, 0
.LBB2_59:                               ;   in Loop: Header=BB2_3 Depth=1
	s_or_b64 exec, exec, s[4:5]
	v_readfirstlane_b32 s4, v32
	v_cmp_eq_u32_e64 s[4:5], s4, v32
	v_pk_mov_b32 v[10:11], 0, 0
	s_and_saveexec_b64 s[14:15], s[4:5]
	s_cbranch_execz .LBB2_65
; %bb.60:                               ;   in Loop: Header=BB2_3 Depth=1
	s_waitcnt lgkmcnt(0)
	global_load_dwordx2 v[28:29], v31, s[12:13] offset:24 glc
	s_waitcnt vmcnt(0)
	buffer_invl2
	buffer_wbinvl1_vol
	global_load_dwordx2 v[10:11], v31, s[12:13] offset:40
	global_load_dwordx2 v[26:27], v31, s[12:13]
	s_waitcnt vmcnt(1)
	v_and_b32_e32 v7, v10, v28
	v_and_b32_e32 v10, v11, v29
	v_mul_lo_u32 v10, v10, 24
	v_mul_hi_u32 v11, v7, 24
	v_mul_lo_u32 v7, v7, 24
	v_add_u32_e32 v11, v11, v10
	s_waitcnt vmcnt(0)
	v_add_co_u32_e32 v10, vcc, v26, v7
	v_addc_co_u32_e32 v11, vcc, v27, v11, vcc
	global_load_dwordx2 v[26:27], v[10:11], off glc
	s_waitcnt vmcnt(0)
	global_atomic_cmpswap_x2 v[10:11], v31, v[26:29], s[12:13] offset:24 glc
	s_waitcnt vmcnt(0)
	buffer_invl2
	buffer_wbinvl1_vol
	v_cmp_ne_u64_e32 vcc, v[10:11], v[28:29]
	s_and_saveexec_b64 s[16:17], vcc
	s_cbranch_execz .LBB2_64
; %bb.61:                               ;   in Loop: Header=BB2_3 Depth=1
	s_mov_b64 s[18:19], 0
.LBB2_62:                               ;   Parent Loop BB2_3 Depth=1
                                        ; =>  This Inner Loop Header: Depth=2
	s_sleep 1
	global_load_dwordx2 v[26:27], v31, s[12:13] offset:40
	global_load_dwordx2 v[36:37], v31, s[12:13]
	v_pk_mov_b32 v[28:29], v[10:11], v[10:11] op_sel:[0,1]
	s_waitcnt vmcnt(1)
	v_and_b32_e32 v10, v26, v28
	s_waitcnt vmcnt(0)
	v_mad_u64_u32 v[10:11], s[20:21], v10, 24, v[36:37]
	v_and_b32_e32 v7, v27, v29
	v_mov_b32_e32 v26, v11
	v_mad_u64_u32 v[26:27], s[20:21], v7, 24, v[26:27]
	v_mov_b32_e32 v11, v26
	global_load_dwordx2 v[26:27], v[10:11], off glc
	s_waitcnt vmcnt(0)
	global_atomic_cmpswap_x2 v[10:11], v31, v[26:29], s[12:13] offset:24 glc
	s_waitcnt vmcnt(0)
	buffer_invl2
	buffer_wbinvl1_vol
	v_cmp_eq_u64_e32 vcc, v[10:11], v[28:29]
	s_or_b64 s[18:19], vcc, s[18:19]
	s_andn2_b64 exec, exec, s[18:19]
	s_cbranch_execnz .LBB2_62
; %bb.63:                               ;   in Loop: Header=BB2_3 Depth=1
	s_or_b64 exec, exec, s[18:19]
.LBB2_64:                               ;   in Loop: Header=BB2_3 Depth=1
	s_or_b64 exec, exec, s[16:17]
.LBB2_65:                               ;   in Loop: Header=BB2_3 Depth=1
	s_or_b64 exec, exec, s[14:15]
	s_waitcnt lgkmcnt(0)
	global_load_dwordx2 v[36:37], v31, s[12:13] offset:40
	global_load_dwordx4 v[26:29], v31, s[12:13]
	v_readfirstlane_b32 s14, v10
	v_readfirstlane_b32 s15, v11
	s_mov_b64 s[16:17], exec
	s_waitcnt vmcnt(1)
	v_readfirstlane_b32 s18, v36
	v_readfirstlane_b32 s19, v37
	s_and_b64 s[18:19], s[14:15], s[18:19]
	s_mul_i32 s20, s19, 24
	s_mul_hi_u32 s21, s18, 24
	s_mul_i32 s24, s18, 24
	s_add_i32 s20, s21, s20
	v_mov_b32_e32 v7, s20
	s_waitcnt vmcnt(0)
	v_add_co_u32_e32 v36, vcc, s24, v26
	v_addc_co_u32_e32 v37, vcc, v27, v7, vcc
	s_and_saveexec_b64 s[20:21], s[4:5]
	s_cbranch_execz .LBB2_67
; %bb.66:                               ;   in Loop: Header=BB2_3 Depth=1
	v_pk_mov_b32 v[10:11], s[16:17], s[16:17] op_sel:[0,1]
	global_store_dwordx4 v[36:37], v[10:13], off offset:8
.LBB2_67:                               ;   in Loop: Header=BB2_3 Depth=1
	s_or_b64 exec, exec, s[20:21]
	s_lshl_b64 s[16:17], s[18:19], 12
	v_mov_b32_e32 v7, s17
	v_add_co_u32_e32 v10, vcc, s16, v28
	v_addc_co_u32_e32 v7, vcc, v29, v7, vcc
	v_or_b32_e32 v11, 0, v1
	v_cmp_lt_u64_e32 vcc, 56, v[4:5]
	v_or_b32_e32 v28, v0, v6
	v_cndmask_b32_e32 v1, v11, v1, vcc
	v_lshl_add_u32 v11, v34, 2, 28
	v_cndmask_b32_e32 v0, v28, v0, vcc
	v_and_b32_e32 v11, 0x1e0, v11
	v_and_or_b32 v0, v0, s23, v11
	v_lshlrev_b32_e32 v11, 6, v32
	v_readfirstlane_b32 s16, v10
	v_readfirstlane_b32 s17, v7
	s_nop 4
	global_store_dwordx4 v11, v[0:3], s[16:17]
	global_store_dwordx4 v11, v[14:17], s[16:17] offset:16
	global_store_dwordx4 v11, v[18:21], s[16:17] offset:32
	;; [unrolled: 1-line block ×3, first 2 shown]
	s_and_saveexec_b64 s[16:17], s[4:5]
	s_cbranch_execz .LBB2_75
; %bb.68:                               ;   in Loop: Header=BB2_3 Depth=1
	global_load_dwordx2 v[18:19], v31, s[12:13] offset:32 glc
	global_load_dwordx2 v[0:1], v31, s[12:13] offset:40
	v_mov_b32_e32 v16, s14
	v_mov_b32_e32 v17, s15
	s_waitcnt vmcnt(0)
	v_readfirstlane_b32 s18, v0
	v_readfirstlane_b32 s19, v1
	s_and_b64 s[18:19], s[18:19], s[14:15]
	s_mul_i32 s19, s19, 24
	s_mul_hi_u32 s20, s18, 24
	s_mul_i32 s18, s18, 24
	s_add_i32 s19, s20, s19
	v_mov_b32_e32 v0, s19
	v_add_co_u32_e32 v14, vcc, s18, v26
	v_addc_co_u32_e32 v15, vcc, v27, v0, vcc
	global_store_dwordx2 v[14:15], v[18:19], off
	buffer_wbl2
	s_waitcnt vmcnt(0)
	global_atomic_cmpswap_x2 v[2:3], v31, v[16:19], s[12:13] offset:32 glc
	s_waitcnt vmcnt(0)
	v_cmp_ne_u64_e32 vcc, v[2:3], v[18:19]
	s_and_saveexec_b64 s[18:19], vcc
	s_cbranch_execz .LBB2_71
; %bb.69:                               ;   in Loop: Header=BB2_3 Depth=1
	s_mov_b64 s[20:21], 0
.LBB2_70:                               ;   Parent Loop BB2_3 Depth=1
                                        ; =>  This Inner Loop Header: Depth=2
	s_sleep 1
	global_store_dwordx2 v[14:15], v[2:3], off
	v_mov_b32_e32 v0, s14
	v_mov_b32_e32 v1, s15
	buffer_wbl2
	s_waitcnt vmcnt(0)
	global_atomic_cmpswap_x2 v[0:1], v31, v[0:3], s[12:13] offset:32 glc
	s_waitcnt vmcnt(0)
	v_cmp_eq_u64_e32 vcc, v[0:1], v[2:3]
	s_or_b64 s[20:21], vcc, s[20:21]
	v_pk_mov_b32 v[2:3], v[0:1], v[0:1] op_sel:[0,1]
	s_andn2_b64 exec, exec, s[20:21]
	s_cbranch_execnz .LBB2_70
.LBB2_71:                               ;   in Loop: Header=BB2_3 Depth=1
	s_or_b64 exec, exec, s[18:19]
	global_load_dwordx2 v[0:1], v31, s[12:13] offset:16
	s_mov_b64 s[20:21], exec
	v_mbcnt_lo_u32_b32 v2, s20, 0
	v_mbcnt_hi_u32_b32 v2, s21, v2
	v_cmp_eq_u32_e32 vcc, 0, v2
	s_and_saveexec_b64 s[18:19], vcc
	s_cbranch_execz .LBB2_73
; %bb.72:                               ;   in Loop: Header=BB2_3 Depth=1
	s_bcnt1_i32_b64 s20, s[20:21]
	v_mov_b32_e32 v30, s20
	buffer_wbl2
	s_waitcnt vmcnt(0)
	global_atomic_add_x2 v[0:1], v[30:31], off offset:8
.LBB2_73:                               ;   in Loop: Header=BB2_3 Depth=1
	s_or_b64 exec, exec, s[18:19]
	s_waitcnt vmcnt(0)
	global_load_dwordx2 v[2:3], v[0:1], off offset:16
	s_waitcnt vmcnt(0)
	v_cmp_eq_u64_e32 vcc, 0, v[2:3]
	s_cbranch_vccnz .LBB2_75
; %bb.74:                               ;   in Loop: Header=BB2_3 Depth=1
	global_load_dword v30, v[0:1], off offset:24
	s_waitcnt vmcnt(0)
	v_and_b32_e32 v0, 0xffffff, v30
	v_readfirstlane_b32 m0, v0
	buffer_wbl2
	global_store_dwordx2 v[2:3], v[30:31], off
	s_sendmsg sendmsg(MSG_INTERRUPT)
.LBB2_75:                               ;   in Loop: Header=BB2_3 Depth=1
	s_or_b64 exec, exec, s[16:17]
	v_add_co_u32_e32 v0, vcc, v10, v11
	v_addc_co_u32_e32 v1, vcc, 0, v7, vcc
	s_branch .LBB2_79
.LBB2_76:                               ;   in Loop: Header=BB2_79 Depth=2
	s_or_b64 exec, exec, s[16:17]
	v_readfirstlane_b32 s16, v2
	s_cmp_eq_u32 s16, 0
	s_cbranch_scc1 .LBB2_78
; %bb.77:                               ;   in Loop: Header=BB2_79 Depth=2
	s_sleep 1
	s_cbranch_execnz .LBB2_79
	s_branch .LBB2_81
.LBB2_78:                               ;   in Loop: Header=BB2_3 Depth=1
	s_branch .LBB2_81
.LBB2_79:                               ;   Parent Loop BB2_3 Depth=1
                                        ; =>  This Inner Loop Header: Depth=2
	v_mov_b32_e32 v2, 1
	s_and_saveexec_b64 s[16:17], s[4:5]
	s_cbranch_execz .LBB2_76
; %bb.80:                               ;   in Loop: Header=BB2_79 Depth=2
	global_load_dword v2, v[36:37], off offset:20 glc
	s_waitcnt vmcnt(0)
	buffer_invl2
	buffer_wbinvl1_vol
	v_and_b32_e32 v2, 1, v2
	s_branch .LBB2_76
.LBB2_81:                               ;   in Loop: Header=BB2_3 Depth=1
	global_load_dwordx4 v[0:3], v[0:1], off
	s_and_saveexec_b64 s[16:17], s[4:5]
	s_cbranch_execz .LBB2_2
; %bb.82:                               ;   in Loop: Header=BB2_3 Depth=1
	global_load_dwordx2 v[2:3], v31, s[12:13] offset:40
	global_load_dwordx2 v[10:11], v31, s[12:13] offset:24 glc
	global_load_dwordx2 v[18:19], v31, s[12:13]
	v_mov_b32_e32 v7, s15
	s_waitcnt vmcnt(2)
	v_add_co_u32_e32 v17, vcc, 1, v2
	v_addc_co_u32_e32 v20, vcc, 0, v3, vcc
	v_add_co_u32_e32 v14, vcc, s14, v17
	v_addc_co_u32_e32 v15, vcc, v20, v7, vcc
	v_cmp_eq_u64_e32 vcc, 0, v[14:15]
	v_cndmask_b32_e32 v15, v15, v20, vcc
	v_cndmask_b32_e32 v14, v14, v17, vcc
	v_and_b32_e32 v3, v15, v3
	v_and_b32_e32 v2, v14, v2
	v_mul_lo_u32 v3, v3, 24
	v_mul_hi_u32 v7, v2, 24
	v_mul_lo_u32 v2, v2, 24
	v_add_u32_e32 v3, v7, v3
	s_waitcnt vmcnt(0)
	v_add_co_u32_e32 v2, vcc, v18, v2
	v_addc_co_u32_e32 v3, vcc, v19, v3, vcc
	v_mov_b32_e32 v16, v10
	global_store_dwordx2 v[2:3], v[10:11], off
	v_mov_b32_e32 v17, v11
	buffer_wbl2
	s_waitcnt vmcnt(0)
	global_atomic_cmpswap_x2 v[16:17], v31, v[14:17], s[12:13] offset:24 glc
	s_waitcnt vmcnt(0)
	v_cmp_ne_u64_e32 vcc, v[16:17], v[10:11]
	s_and_b64 exec, exec, vcc
	s_cbranch_execz .LBB2_2
; %bb.83:                               ;   in Loop: Header=BB2_3 Depth=1
	s_mov_b64 s[4:5], 0
.LBB2_84:                               ;   Parent Loop BB2_3 Depth=1
                                        ; =>  This Inner Loop Header: Depth=2
	s_sleep 1
	global_store_dwordx2 v[2:3], v[16:17], off
	buffer_wbl2
	s_waitcnt vmcnt(0)
	global_atomic_cmpswap_x2 v[10:11], v31, v[14:17], s[12:13] offset:24 glc
	s_waitcnt vmcnt(0)
	v_cmp_eq_u64_e32 vcc, v[10:11], v[16:17]
	s_or_b64 s[4:5], vcc, s[4:5]
	v_pk_mov_b32 v[16:17], v[10:11], v[10:11] op_sel:[0,1]
	s_andn2_b64 exec, exec, s[4:5]
	s_cbranch_execnz .LBB2_84
	s_branch .LBB2_2
.LBB2_85:
	s_or_b64 exec, exec, s[6:7]
                                        ; implicit-def: $vgpr0
                                        ; implicit-def: $vgpr1
                                        ; implicit-def: $vgpr2
.LBB2_86:
	s_andn2_saveexec_b64 s[6:7], s[10:11]
	s_cbranch_execz .LBB2_109
; %bb.87:
	s_load_dwordx2 s[8:9], s[8:9], 0x50
	s_waitcnt vmcnt(0)
	v_mbcnt_hi_u32_b32 v3, -1, v2
	v_readfirstlane_b32 s4, v3
	v_cmp_eq_u32_e64 s[4:5], s4, v3
	v_pk_mov_b32 v[8:9], 0, 0
	s_and_saveexec_b64 s[10:11], s[4:5]
	s_cbranch_execz .LBB2_93
; %bb.88:
	v_mov_b32_e32 v2, 0
	s_waitcnt lgkmcnt(0)
	global_load_dwordx2 v[6:7], v2, s[8:9] offset:24 glc
	s_waitcnt vmcnt(0)
	buffer_invl2
	buffer_wbinvl1_vol
	global_load_dwordx2 v[4:5], v2, s[8:9] offset:40
	global_load_dwordx2 v[8:9], v2, s[8:9]
	s_waitcnt vmcnt(1)
	v_and_b32_e32 v4, v4, v6
	v_and_b32_e32 v5, v5, v7
	v_mul_lo_u32 v5, v5, 24
	v_mul_hi_u32 v10, v4, 24
	v_mul_lo_u32 v4, v4, 24
	v_add_u32_e32 v5, v10, v5
	s_waitcnt vmcnt(0)
	v_add_co_u32_e32 v4, vcc, v8, v4
	v_addc_co_u32_e32 v5, vcc, v9, v5, vcc
	global_load_dwordx2 v[4:5], v[4:5], off glc
	s_waitcnt vmcnt(0)
	global_atomic_cmpswap_x2 v[8:9], v2, v[4:7], s[8:9] offset:24 glc
	s_waitcnt vmcnt(0)
	buffer_invl2
	buffer_wbinvl1_vol
	v_cmp_ne_u64_e32 vcc, v[8:9], v[6:7]
	s_and_saveexec_b64 s[12:13], vcc
	s_cbranch_execz .LBB2_92
; %bb.89:
	s_mov_b64 s[14:15], 0
.LBB2_90:                               ; =>This Inner Loop Header: Depth=1
	s_sleep 1
	global_load_dwordx2 v[4:5], v2, s[8:9] offset:40
	global_load_dwordx2 v[10:11], v2, s[8:9]
	v_pk_mov_b32 v[6:7], v[8:9], v[8:9] op_sel:[0,1]
	s_waitcnt vmcnt(1)
	v_and_b32_e32 v4, v4, v6
	v_and_b32_e32 v9, v5, v7
	s_waitcnt vmcnt(0)
	v_mad_u64_u32 v[4:5], s[16:17], v4, 24, v[10:11]
	v_mov_b32_e32 v8, v5
	v_mad_u64_u32 v[8:9], s[16:17], v9, 24, v[8:9]
	v_mov_b32_e32 v5, v8
	global_load_dwordx2 v[4:5], v[4:5], off glc
	s_waitcnt vmcnt(0)
	global_atomic_cmpswap_x2 v[8:9], v2, v[4:7], s[8:9] offset:24 glc
	s_waitcnt vmcnt(0)
	buffer_invl2
	buffer_wbinvl1_vol
	v_cmp_eq_u64_e32 vcc, v[8:9], v[6:7]
	s_or_b64 s[14:15], vcc, s[14:15]
	s_andn2_b64 exec, exec, s[14:15]
	s_cbranch_execnz .LBB2_90
; %bb.91:
	s_or_b64 exec, exec, s[14:15]
.LBB2_92:
	s_or_b64 exec, exec, s[12:13]
.LBB2_93:
	s_or_b64 exec, exec, s[10:11]
	v_mov_b32_e32 v2, 0
	s_waitcnt lgkmcnt(0)
	global_load_dwordx2 v[10:11], v2, s[8:9] offset:40
	global_load_dwordx4 v[4:7], v2, s[8:9]
	v_readfirstlane_b32 s10, v8
	v_readfirstlane_b32 s11, v9
	s_mov_b64 s[12:13], exec
	s_waitcnt vmcnt(1)
	v_readfirstlane_b32 s14, v10
	v_readfirstlane_b32 s15, v11
	s_and_b64 s[14:15], s[10:11], s[14:15]
	s_mul_i32 s16, s15, 24
	s_mul_hi_u32 s17, s14, 24
	s_mul_i32 s18, s14, 24
	s_add_i32 s16, s17, s16
	v_mov_b32_e32 v9, s16
	s_waitcnt vmcnt(0)
	v_add_co_u32_e32 v8, vcc, s18, v4
	v_addc_co_u32_e32 v9, vcc, v5, v9, vcc
	s_and_saveexec_b64 s[16:17], s[4:5]
	s_cbranch_execz .LBB2_95
; %bb.94:
	v_pk_mov_b32 v[10:11], s[12:13], s[12:13] op_sel:[0,1]
	v_mov_b32_e32 v12, 2
	v_mov_b32_e32 v13, 1
	global_store_dwordx4 v[8:9], v[10:13], off offset:8
.LBB2_95:
	s_or_b64 exec, exec, s[16:17]
	s_lshl_b64 s[12:13], s[14:15], 12
	v_mov_b32_e32 v10, s13
	v_add_co_u32_e32 v6, vcc, s12, v6
	s_movk_i32 s12, 0xff1f
	v_addc_co_u32_e32 v7, vcc, v7, v10, vcc
	v_and_or_b32 v0, v0, s12, 32
	s_mov_b32 s12, 0
	v_lshlrev_b32_e32 v10, 6, v3
	v_mov_b32_e32 v3, v2
	v_readfirstlane_b32 s16, v6
	v_readfirstlane_b32 s17, v7
	s_mov_b32 s13, s12
	s_mov_b32 s14, s12
	;; [unrolled: 1-line block ×3, first 2 shown]
	s_nop 1
	global_store_dwordx4 v10, v[0:3], s[16:17]
	s_nop 0
	v_pk_mov_b32 v[0:1], s[12:13], s[12:13] op_sel:[0,1]
	v_pk_mov_b32 v[2:3], s[14:15], s[14:15] op_sel:[0,1]
	global_store_dwordx4 v10, v[0:3], s[16:17] offset:16
	global_store_dwordx4 v10, v[0:3], s[16:17] offset:32
	;; [unrolled: 1-line block ×3, first 2 shown]
	s_and_saveexec_b64 s[12:13], s[4:5]
	s_cbranch_execz .LBB2_103
; %bb.96:
	v_mov_b32_e32 v6, 0
	global_load_dwordx2 v[12:13], v6, s[8:9] offset:32 glc
	global_load_dwordx2 v[0:1], v6, s[8:9] offset:40
	v_mov_b32_e32 v10, s10
	v_mov_b32_e32 v11, s11
	s_waitcnt vmcnt(0)
	v_and_b32_e32 v0, s10, v0
	v_and_b32_e32 v1, s11, v1
	v_mul_lo_u32 v1, v1, 24
	v_mul_hi_u32 v2, v0, 24
	v_mul_lo_u32 v0, v0, 24
	v_add_u32_e32 v1, v2, v1
	v_add_co_u32_e32 v4, vcc, v4, v0
	v_addc_co_u32_e32 v5, vcc, v5, v1, vcc
	global_store_dwordx2 v[4:5], v[12:13], off
	buffer_wbl2
	s_waitcnt vmcnt(0)
	global_atomic_cmpswap_x2 v[2:3], v6, v[10:13], s[8:9] offset:32 glc
	s_waitcnt vmcnt(0)
	v_cmp_ne_u64_e32 vcc, v[2:3], v[12:13]
	s_and_saveexec_b64 s[14:15], vcc
	s_cbranch_execz .LBB2_99
; %bb.97:
	s_mov_b64 s[16:17], 0
.LBB2_98:                               ; =>This Inner Loop Header: Depth=1
	s_sleep 1
	global_store_dwordx2 v[4:5], v[2:3], off
	v_mov_b32_e32 v0, s10
	v_mov_b32_e32 v1, s11
	buffer_wbl2
	s_waitcnt vmcnt(0)
	global_atomic_cmpswap_x2 v[0:1], v6, v[0:3], s[8:9] offset:32 glc
	s_waitcnt vmcnt(0)
	v_cmp_eq_u64_e32 vcc, v[0:1], v[2:3]
	s_or_b64 s[16:17], vcc, s[16:17]
	v_pk_mov_b32 v[2:3], v[0:1], v[0:1] op_sel:[0,1]
	s_andn2_b64 exec, exec, s[16:17]
	s_cbranch_execnz .LBB2_98
.LBB2_99:
	s_or_b64 exec, exec, s[14:15]
	v_mov_b32_e32 v3, 0
	global_load_dwordx2 v[0:1], v3, s[8:9] offset:16
	s_mov_b64 s[14:15], exec
	v_mbcnt_lo_u32_b32 v2, s14, 0
	v_mbcnt_hi_u32_b32 v2, s15, v2
	v_cmp_eq_u32_e32 vcc, 0, v2
	s_and_saveexec_b64 s[16:17], vcc
	s_cbranch_execz .LBB2_101
; %bb.100:
	s_bcnt1_i32_b64 s14, s[14:15]
	v_mov_b32_e32 v2, s14
	buffer_wbl2
	s_waitcnt vmcnt(0)
	global_atomic_add_x2 v[0:1], v[2:3], off offset:8
.LBB2_101:
	s_or_b64 exec, exec, s[16:17]
	s_waitcnt vmcnt(0)
	global_load_dwordx2 v[2:3], v[0:1], off offset:16
	s_waitcnt vmcnt(0)
	v_cmp_eq_u64_e32 vcc, 0, v[2:3]
	s_cbranch_vccnz .LBB2_103
; %bb.102:
	global_load_dword v0, v[0:1], off offset:24
	v_mov_b32_e32 v1, 0
	buffer_wbl2
	s_waitcnt vmcnt(0)
	global_store_dwordx2 v[2:3], v[0:1], off
	v_and_b32_e32 v0, 0xffffff, v0
	v_readfirstlane_b32 m0, v0
	s_sendmsg sendmsg(MSG_INTERRUPT)
.LBB2_103:
	s_or_b64 exec, exec, s[12:13]
	s_branch .LBB2_107
.LBB2_104:                              ;   in Loop: Header=BB2_107 Depth=1
	s_or_b64 exec, exec, s[12:13]
	v_readfirstlane_b32 s12, v0
	s_cmp_eq_u32 s12, 0
	s_cbranch_scc1 .LBB2_106
; %bb.105:                              ;   in Loop: Header=BB2_107 Depth=1
	s_sleep 1
	s_cbranch_execnz .LBB2_107
	s_branch .LBB2_110
.LBB2_106:
	s_branch .LBB2_110
.LBB2_107:                              ; =>This Inner Loop Header: Depth=1
	v_mov_b32_e32 v0, 1
	s_and_saveexec_b64 s[12:13], s[4:5]
	s_cbranch_execz .LBB2_104
; %bb.108:                              ;   in Loop: Header=BB2_107 Depth=1
	global_load_dword v0, v[8:9], off offset:20 glc
	s_waitcnt vmcnt(0)
	buffer_invl2
	buffer_wbinvl1_vol
	v_and_b32_e32 v0, 1, v0
	s_branch .LBB2_104
.LBB2_109:
	s_or_b64 exec, exec, s[6:7]
	s_waitcnt vmcnt(0) lgkmcnt(0)
	s_setpc_b64 s[30:31]
.LBB2_110:
	s_and_saveexec_b64 s[12:13], s[4:5]
	s_cbranch_execz .LBB2_113
; %bb.111:
	v_mov_b32_e32 v6, 0
	global_load_dwordx2 v[4:5], v6, s[8:9] offset:40
	global_load_dwordx2 v[8:9], v6, s[8:9] offset:24 glc
	global_load_dwordx2 v[10:11], v6, s[8:9]
	v_mov_b32_e32 v1, s11
	s_mov_b64 s[4:5], 0
	s_waitcnt vmcnt(2)
	v_add_co_u32_e32 v3, vcc, 1, v4
	v_addc_co_u32_e32 v7, vcc, 0, v5, vcc
	v_add_co_u32_e32 v0, vcc, s10, v3
	v_addc_co_u32_e32 v1, vcc, v7, v1, vcc
	v_cmp_eq_u64_e32 vcc, 0, v[0:1]
	v_cndmask_b32_e32 v1, v1, v7, vcc
	v_cndmask_b32_e32 v0, v0, v3, vcc
	v_and_b32_e32 v3, v1, v5
	v_and_b32_e32 v4, v0, v4
	v_mul_lo_u32 v3, v3, 24
	v_mul_hi_u32 v5, v4, 24
	v_mul_lo_u32 v4, v4, 24
	v_add_u32_e32 v3, v5, v3
	s_waitcnt vmcnt(0)
	v_add_co_u32_e32 v4, vcc, v10, v4
	v_addc_co_u32_e32 v5, vcc, v11, v3, vcc
	v_mov_b32_e32 v2, v8
	global_store_dwordx2 v[4:5], v[8:9], off
	v_mov_b32_e32 v3, v9
	buffer_wbl2
	s_waitcnt vmcnt(0)
	global_atomic_cmpswap_x2 v[2:3], v6, v[0:3], s[8:9] offset:24 glc
	s_waitcnt vmcnt(0)
	v_cmp_ne_u64_e32 vcc, v[2:3], v[8:9]
	s_and_b64 exec, exec, vcc
	s_cbranch_execz .LBB2_113
.LBB2_112:                              ; =>This Inner Loop Header: Depth=1
	s_sleep 1
	global_store_dwordx2 v[4:5], v[2:3], off
	buffer_wbl2
	s_waitcnt vmcnt(0)
	global_atomic_cmpswap_x2 v[8:9], v6, v[0:3], s[8:9] offset:24 glc
	s_waitcnt vmcnt(0)
	v_cmp_eq_u64_e32 vcc, v[8:9], v[2:3]
	s_or_b64 s[4:5], vcc, s[4:5]
	v_pk_mov_b32 v[2:3], v[8:9], v[8:9] op_sel:[0,1]
	s_andn2_b64 exec, exec, s[4:5]
	s_cbranch_execnz .LBB2_112
.LBB2_113:
	s_or_b64 exec, exec, s[12:13]
	s_or_b64 exec, exec, s[6:7]
	s_waitcnt vmcnt(0) lgkmcnt(0)
	s_setpc_b64 s[30:31]
.Lfunc_end2:
	.size	__ockl_fprintf_append_string_n, .Lfunc_end2-__ockl_fprintf_append_string_n
                                        ; -- End function
	.section	.AMDGPU.csdata,"",@progbits
; Function info:
; codeLenInByte = 4372
; NumSgprs: 36
; NumVgprs: 38
; NumAgprs: 0
; TotalNumVgprs: 38
; ScratchSize: 0
; MemoryBound: 0
	.text
	.p2align	2                               ; -- Begin function __assert_fail
	.type	__assert_fail,@function
__assert_fail:                          ; @__assert_fail
; %bb.0:
	s_waitcnt vmcnt(0) expcnt(0) lgkmcnt(0)
	s_mov_b32 s25, s33
	s_mov_b32 s33, s32
	s_or_saveexec_b64 s[4:5], -1
	buffer_store_dword v40, off, s[0:3], s33 offset:48 ; 4-byte Folded Spill
	s_mov_b64 exec, s[4:5]
	v_writelane_b32 v40, s30, 0
	s_addk_i32 s32, 0x1000
	v_writelane_b32 v40, s31, 1
	s_getpc_b64 s[4:5]
	s_add_u32 s4, s4, __const.__assert_fail.fmt@rel32@lo+4
	s_addc_u32 s5, s5, __const.__assert_fail.fmt@rel32@hi+12
	s_load_dwordx4 s[4:7], s[4:5], 0x0
	v_mov_b32_e32 v4, v0
	v_mov_b32_e32 v0, 0xa2e
	buffer_store_short v0, off, s[0:3], s33 offset:44
	v_mov_b32_e32 v0, 0x64656c69
	buffer_store_dword v0, off, s[0:3], s33 offset:40
	v_mov_b32_e32 v0, 0x61662027
	s_getpc_b64 s[10:11]
	s_add_u32 s10, s10, __const.__assert_fail.fmt@rel32@lo+20
	s_addc_u32 s11, s11, __const.__assert_fail.fmt@rel32@hi+28
	buffer_store_dword v0, off, s[0:3], s33 offset:36
	v_mov_b32_e32 v0, 0x73256020
	s_load_dwordx4 s[12:15], s[10:11], 0x0
	buffer_store_dword v0, off, s[0:3], s33 offset:32
	s_waitcnt lgkmcnt(0)
	v_mov_b32_e32 v0, s7
	buffer_store_dword v0, off, s[0:3], s33 offset:12
	v_mov_b32_e32 v0, s6
	buffer_store_dword v0, off, s[0:3], s33 offset:8
	;; [unrolled: 2-line block ×3, first 2 shown]
	v_mov_b32_e32 v0, s4
	buffer_store_dword v0, off, s[0:3], s33
	v_mov_b32_e32 v0, s15
	buffer_store_dword v0, off, s[0:3], s33 offset:28
	v_mov_b32_e32 v0, s14
	buffer_store_dword v0, off, s[0:3], s33 offset:24
	;; [unrolled: 2-line block ×3, first 2 shown]
	v_mov_b32_e32 v0, s12
	s_load_dwordx2 s[10:11], s[8:9], 0x50
	buffer_store_dword v0, off, s[0:3], s33 offset:16
	v_mbcnt_lo_u32_b32 v0, -1, 0
	v_mbcnt_hi_u32_b32 v37, -1, v0
	v_readfirstlane_b32 s4, v37
	v_mov_b32_e32 v5, v1
	v_mov_b32_e32 v8, 0
	v_cmp_eq_u32_e64 s[4:5], s4, v37
	v_pk_mov_b32 v[6:7], 0, 0
	buffer_store_byte v8, off, s[0:3], s33 offset:46
	s_and_saveexec_b64 s[6:7], s[4:5]
	s_cbranch_execz .LBB3_6
; %bb.1:
	s_waitcnt lgkmcnt(0)
	global_load_dwordx2 v[2:3], v8, s[10:11] offset:24 glc
	s_waitcnt vmcnt(0)
	buffer_invl2
	buffer_wbinvl1_vol
	global_load_dwordx2 v[0:1], v8, s[10:11] offset:40
	global_load_dwordx2 v[6:7], v8, s[10:11]
	s_waitcnt vmcnt(1)
	v_and_b32_e32 v0, v0, v2
	v_and_b32_e32 v1, v1, v3
	v_mul_lo_u32 v1, v1, 24
	v_mul_hi_u32 v9, v0, 24
	v_mul_lo_u32 v0, v0, 24
	v_add_u32_e32 v1, v9, v1
	s_waitcnt vmcnt(0)
	v_add_co_u32_e32 v0, vcc, v6, v0
	v_addc_co_u32_e32 v1, vcc, v7, v1, vcc
	global_load_dwordx2 v[0:1], v[0:1], off glc
	s_waitcnt vmcnt(0)
	global_atomic_cmpswap_x2 v[6:7], v8, v[0:3], s[10:11] offset:24 glc
	s_waitcnt vmcnt(0)
	buffer_invl2
	buffer_wbinvl1_vol
	v_cmp_ne_u64_e32 vcc, v[6:7], v[2:3]
	s_and_saveexec_b64 s[12:13], vcc
	s_cbranch_execz .LBB3_5
; %bb.2:
	s_mov_b64 s[14:15], 0
.LBB3_3:                                ; =>This Inner Loop Header: Depth=1
	s_sleep 1
	global_load_dwordx2 v[0:1], v8, s[10:11] offset:40
	global_load_dwordx2 v[10:11], v8, s[10:11]
	v_pk_mov_b32 v[2:3], v[6:7], v[6:7] op_sel:[0,1]
	s_waitcnt vmcnt(1)
	v_and_b32_e32 v0, v0, v2
	v_and_b32_e32 v7, v1, v3
	s_waitcnt vmcnt(0)
	v_mad_u64_u32 v[0:1], s[16:17], v0, 24, v[10:11]
	v_mov_b32_e32 v6, v1
	v_mad_u64_u32 v[6:7], s[16:17], v7, 24, v[6:7]
	v_mov_b32_e32 v1, v6
	global_load_dwordx2 v[0:1], v[0:1], off glc
	s_waitcnt vmcnt(0)
	global_atomic_cmpswap_x2 v[6:7], v8, v[0:3], s[10:11] offset:24 glc
	s_waitcnt vmcnt(0)
	buffer_invl2
	buffer_wbinvl1_vol
	v_cmp_eq_u64_e32 vcc, v[6:7], v[2:3]
	s_or_b64 s[14:15], vcc, s[14:15]
	s_andn2_b64 exec, exec, s[14:15]
	s_cbranch_execnz .LBB3_3
; %bb.4:
	s_or_b64 exec, exec, s[14:15]
.LBB3_5:
	s_or_b64 exec, exec, s[12:13]
.LBB3_6:
	s_or_b64 exec, exec, s[6:7]
	s_waitcnt lgkmcnt(0)
	global_load_dwordx2 v[10:11], v8, s[10:11] offset:40
	global_load_dwordx4 v[0:3], v8, s[10:11]
	v_readfirstlane_b32 s6, v6
	v_readfirstlane_b32 s7, v7
	s_mov_b64 s[12:13], exec
	s_waitcnt vmcnt(1)
	v_readfirstlane_b32 s14, v10
	v_readfirstlane_b32 s15, v11
	s_and_b64 s[14:15], s[6:7], s[14:15]
	s_mul_i32 s16, s15, 24
	s_mul_hi_u32 s17, s14, 24
	s_mul_i32 s18, s14, 24
	s_add_i32 s16, s17, s16
	v_mov_b32_e32 v6, s16
	s_waitcnt vmcnt(0)
	v_add_co_u32_e32 v10, vcc, s18, v0
	v_addc_co_u32_e32 v11, vcc, v1, v6, vcc
	s_and_saveexec_b64 s[16:17], s[4:5]
	s_cbranch_execz .LBB3_8
; %bb.7:
	v_pk_mov_b32 v[6:7], s[12:13], s[12:13] op_sel:[0,1]
	v_mov_b32_e32 v8, 2
	v_mov_b32_e32 v9, 1
	global_store_dwordx4 v[10:11], v[6:9], off offset:8
.LBB3_8:
	s_or_b64 exec, exec, s[16:17]
	s_lshl_b64 s[12:13], s[14:15], 12
	v_mov_b32_e32 v6, s13
	v_add_co_u32_e32 v2, vcc, s12, v2
	s_mov_b32 s12, 0
	v_addc_co_u32_e32 v3, vcc, v3, v6, vcc
	v_lshlrev_b32_e32 v36, 6, v37
	s_mov_b32 s14, s12
	s_mov_b32 s15, s12
	v_mov_b32_e32 v7, 0
	v_add_co_u32_e32 v12, vcc, v2, v36
	s_mov_b32 s13, s12
	v_pk_mov_b32 v[16:17], s[14:15], s[14:15] op_sel:[0,1]
	v_addc_co_u32_e32 v13, vcc, 0, v3, vcc
	v_mov_b32_e32 v6, 33
	v_mov_b32_e32 v8, 1
	;; [unrolled: 1-line block ×3, first 2 shown]
	v_readfirstlane_b32 s16, v2
	v_readfirstlane_b32 s17, v3
	v_pk_mov_b32 v[14:15], s[12:13], s[12:13] op_sel:[0,1]
	s_nop 3
	global_store_dwordx4 v36, v[6:9], s[16:17]
	global_store_dwordx4 v36, v[14:17], s[16:17] offset:16
	global_store_dwordx4 v36, v[14:17], s[16:17] offset:32
	;; [unrolled: 1-line block ×3, first 2 shown]
	s_and_saveexec_b64 s[12:13], s[4:5]
	s_cbranch_execz .LBB3_16
; %bb.9:
	global_load_dwordx2 v[16:17], v7, s[10:11] offset:32 glc
	global_load_dwordx2 v[2:3], v7, s[10:11] offset:40
	v_mov_b32_e32 v14, s6
	v_mov_b32_e32 v15, s7
	s_waitcnt vmcnt(0)
	v_and_b32_e32 v2, s6, v2
	v_and_b32_e32 v3, s7, v3
	v_mul_lo_u32 v3, v3, 24
	v_mul_hi_u32 v6, v2, 24
	v_mul_lo_u32 v2, v2, 24
	v_add_u32_e32 v3, v6, v3
	v_add_co_u32_e32 v8, vcc, v0, v2
	v_addc_co_u32_e32 v9, vcc, v1, v3, vcc
	global_store_dwordx2 v[8:9], v[16:17], off
	buffer_wbl2
	s_waitcnt vmcnt(0)
	global_atomic_cmpswap_x2 v[2:3], v7, v[14:17], s[10:11] offset:32 glc
	s_waitcnt vmcnt(0)
	v_cmp_ne_u64_e32 vcc, v[2:3], v[16:17]
	s_and_saveexec_b64 s[14:15], vcc
	s_cbranch_execz .LBB3_12
; %bb.10:
	s_mov_b64 s[16:17], 0
.LBB3_11:                               ; =>This Inner Loop Header: Depth=1
	s_sleep 1
	global_store_dwordx2 v[8:9], v[2:3], off
	v_mov_b32_e32 v0, s6
	v_mov_b32_e32 v1, s7
	buffer_wbl2
	s_waitcnt vmcnt(0)
	global_atomic_cmpswap_x2 v[0:1], v7, v[0:3], s[10:11] offset:32 glc
	s_waitcnt vmcnt(0)
	v_cmp_eq_u64_e32 vcc, v[0:1], v[2:3]
	s_or_b64 s[16:17], vcc, s[16:17]
	v_pk_mov_b32 v[2:3], v[0:1], v[0:1] op_sel:[0,1]
	s_andn2_b64 exec, exec, s[16:17]
	s_cbranch_execnz .LBB3_11
.LBB3_12:
	s_or_b64 exec, exec, s[14:15]
	v_mov_b32_e32 v3, 0
	global_load_dwordx2 v[0:1], v3, s[10:11] offset:16
	s_mov_b64 s[14:15], exec
	v_mbcnt_lo_u32_b32 v2, s14, 0
	v_mbcnt_hi_u32_b32 v2, s15, v2
	v_cmp_eq_u32_e32 vcc, 0, v2
	s_and_saveexec_b64 s[16:17], vcc
	s_cbranch_execz .LBB3_14
; %bb.13:
	s_bcnt1_i32_b64 s14, s[14:15]
	v_mov_b32_e32 v2, s14
	buffer_wbl2
	s_waitcnt vmcnt(0)
	global_atomic_add_x2 v[0:1], v[2:3], off offset:8
.LBB3_14:
	s_or_b64 exec, exec, s[16:17]
	s_waitcnt vmcnt(0)
	global_load_dwordx2 v[2:3], v[0:1], off offset:16
	s_waitcnt vmcnt(0)
	v_cmp_eq_u64_e32 vcc, 0, v[2:3]
	s_cbranch_vccnz .LBB3_16
; %bb.15:
	global_load_dword v0, v[0:1], off offset:24
	v_mov_b32_e32 v1, 0
	buffer_wbl2
	s_waitcnt vmcnt(0)
	global_store_dwordx2 v[2:3], v[0:1], off
	v_and_b32_e32 v0, 0xffffff, v0
	v_readfirstlane_b32 m0, v0
	s_sendmsg sendmsg(MSG_INTERRUPT)
.LBB3_16:
	s_or_b64 exec, exec, s[12:13]
	s_branch .LBB3_20
.LBB3_17:                               ;   in Loop: Header=BB3_20 Depth=1
	s_or_b64 exec, exec, s[12:13]
	v_readfirstlane_b32 s12, v0
	s_cmp_eq_u32 s12, 0
	s_cbranch_scc1 .LBB3_19
; %bb.18:                               ;   in Loop: Header=BB3_20 Depth=1
	s_sleep 1
	s_cbranch_execnz .LBB3_20
	s_branch .LBB3_22
.LBB3_19:
	s_branch .LBB3_22
.LBB3_20:                               ; =>This Inner Loop Header: Depth=1
	v_mov_b32_e32 v0, 1
	s_and_saveexec_b64 s[12:13], s[4:5]
	s_cbranch_execz .LBB3_17
; %bb.21:                               ;   in Loop: Header=BB3_20 Depth=1
	global_load_dword v0, v[10:11], off offset:20 glc
	s_waitcnt vmcnt(0)
	buffer_invl2
	buffer_wbinvl1_vol
	v_and_b32_e32 v0, 1, v0
	s_branch .LBB3_17
.LBB3_22:
	global_load_dwordx2 v[6:7], v[12:13], off
	s_and_saveexec_b64 s[12:13], s[4:5]
	s_cbranch_execz .LBB3_25
; %bb.23:
	v_mov_b32_e32 v10, 0
	global_load_dwordx2 v[8:9], v10, s[10:11] offset:40
	global_load_dwordx2 v[12:13], v10, s[10:11] offset:24 glc
	global_load_dwordx2 v[14:15], v10, s[10:11]
	v_mov_b32_e32 v1, s7
	s_mov_b64 s[4:5], 0
	s_waitcnt vmcnt(2)
	v_add_co_u32_e32 v3, vcc, 1, v8
	v_addc_co_u32_e32 v11, vcc, 0, v9, vcc
	v_add_co_u32_e32 v0, vcc, s6, v3
	v_addc_co_u32_e32 v1, vcc, v11, v1, vcc
	v_cmp_eq_u64_e32 vcc, 0, v[0:1]
	v_cndmask_b32_e32 v1, v1, v11, vcc
	v_cndmask_b32_e32 v0, v0, v3, vcc
	v_and_b32_e32 v3, v1, v9
	v_and_b32_e32 v8, v0, v8
	v_mul_lo_u32 v3, v3, 24
	v_mul_hi_u32 v9, v8, 24
	v_mul_lo_u32 v8, v8, 24
	v_add_u32_e32 v3, v9, v3
	s_waitcnt vmcnt(0)
	v_add_co_u32_e32 v8, vcc, v14, v8
	v_addc_co_u32_e32 v9, vcc, v15, v3, vcc
	v_mov_b32_e32 v2, v12
	global_store_dwordx2 v[8:9], v[12:13], off
	v_mov_b32_e32 v3, v13
	buffer_wbl2
	s_waitcnt vmcnt(0)
	global_atomic_cmpswap_x2 v[2:3], v10, v[0:3], s[10:11] offset:24 glc
	s_waitcnt vmcnt(0)
	v_cmp_ne_u64_e32 vcc, v[2:3], v[12:13]
	s_and_b64 exec, exec, vcc
	s_cbranch_execz .LBB3_25
.LBB3_24:                               ; =>This Inner Loop Header: Depth=1
	s_sleep 1
	global_store_dwordx2 v[8:9], v[2:3], off
	buffer_wbl2
	s_waitcnt vmcnt(0)
	global_atomic_cmpswap_x2 v[12:13], v10, v[0:3], s[10:11] offset:24 glc
	s_waitcnt vmcnt(0)
	v_cmp_eq_u64_e32 vcc, v[12:13], v[2:3]
	s_or_b64 s[4:5], vcc, s[4:5]
	v_pk_mov_b32 v[2:3], v[12:13], v[12:13] op_sel:[0,1]
	s_andn2_b64 exec, exec, s[4:5]
	s_cbranch_execnz .LBB3_24
.LBB3_25:
	s_or_b64 exec, exec, s[12:13]
	v_lshrrev_b32_e64 v1, 6, s33
	s_mov_b64 s[4:5], 0
.LBB3_26:                               ; =>This Inner Loop Header: Depth=1
	buffer_load_ubyte v2, v1, s[0:3], 0 offen
	v_add_u32_e32 v0, 1, v1
	v_mov_b32_e32 v1, v0
	s_waitcnt vmcnt(0)
	v_cmp_eq_u16_e32 vcc, 0, v2
	s_or_b64 s[4:5], vcc, s[4:5]
	s_andn2_b64 exec, exec, s[4:5]
	s_cbranch_execnz .LBB3_26
; %bb.27:
	s_or_b64 exec, exec, s[4:5]
	v_lshrrev_b32_e64 v31, 6, s33
	v_cmp_ne_u32_e32 vcc, -1, v31
	s_cbranch_vccz .LBB3_112
; %bb.28:
	v_lshrrev_b32_e64 v1, 6, s33
	v_subrev_u32_e32 v28, v1, v0
	v_ashrrev_i32_e32 v29, 31, v28
	v_and_b32_e32 v30, 2, v6
	v_mov_b32_e32 v33, 0
	v_and_b32_e32 v0, -3, v6
	v_mov_b32_e32 v1, v7
	s_mov_b64 s[12:13], 0
	s_mov_b32 s20, 0
	s_movk_i32 s21, 0xff1f
	v_mov_b32_e32 v10, 2
	v_mov_b32_e32 v11, 1
	s_branch .LBB3_30
.LBB3_29:                               ;   in Loop: Header=BB3_30 Depth=1
	s_or_b64 exec, exec, s[6:7]
	v_sub_co_u32_e32 v28, vcc, v28, v38
	v_subb_co_u32_e32 v29, vcc, v29, v39, vcc
	v_cmp_eq_u64_e32 vcc, 0, v[28:29]
	s_or_b64 s[12:13], vcc, s[12:13]
	v_add_u32_e32 v31, v31, v38
	s_andn2_b64 exec, exec, s[12:13]
	s_cbranch_execz .LBB3_113
.LBB3_30:                               ; =>This Loop Header: Depth=1
                                        ;     Child Loop BB3_33 Depth 2
                                        ;     Child Loop BB3_41 Depth 2
	;; [unrolled: 1-line block ×11, first 2 shown]
	v_cmp_gt_u64_e32 vcc, 56, v[28:29]
	v_cndmask_b32_e32 v38, 56, v28, vcc
	v_cmp_gt_u64_e64 s[4:5], 8, v[28:29]
                                        ; implicit-def: $vgpr2_vgpr3
                                        ; implicit-def: $sgpr14
	s_and_saveexec_b64 s[6:7], s[4:5]
	s_xor_b64 s[6:7], exec, s[6:7]
	s_cbranch_execz .LBB3_36
; %bb.31:                               ;   in Loop: Header=BB3_30 Depth=1
	s_mov_b64 s[16:17], 0
	v_cmp_ne_u64_e64 s[4:5], 0, v[28:29]
	s_waitcnt vmcnt(0)
	v_pk_mov_b32 v[2:3], 0, 0
	s_and_saveexec_b64 s[14:15], s[4:5]
	s_cbranch_execz .LBB3_35
; %bb.32:                               ;   in Loop: Header=BB3_30 Depth=1
	s_mov_b32 s22, 0
	v_pk_mov_b32 v[2:3], 0, 0
	s_mov_b64 s[18:19], 0
.LBB3_33:                               ;   Parent Loop BB3_30 Depth=1
                                        ; =>  This Inner Loop Header: Depth=2
	v_add_u32_e32 v8, s22, v31
	buffer_load_ubyte v8, v8, s[0:3], 0 offen
	v_mov_b32_e32 v9, s20
	s_add_i32 s22, s22, 1
	v_cmp_eq_u32_e64 s[4:5], s22, v38
	s_waitcnt vmcnt(0)
	v_and_b32_e32 v8, 0xffff, v8
	v_lshlrev_b64 v[8:9], s18, v[8:9]
	s_add_u32 s18, s18, 8
	s_addc_u32 s19, s19, 0
	v_or_b32_e32 v3, v9, v3
	s_or_b64 s[16:17], s[4:5], s[16:17]
	v_or_b32_e32 v2, v8, v2
	s_andn2_b64 exec, exec, s[16:17]
	s_cbranch_execnz .LBB3_33
; %bb.34:                               ;   in Loop: Header=BB3_30 Depth=1
	s_or_b64 exec, exec, s[16:17]
.LBB3_35:                               ;   in Loop: Header=BB3_30 Depth=1
	s_or_b64 exec, exec, s[14:15]
	s_mov_b32 s14, 0
.LBB3_36:                               ;   in Loop: Header=BB3_30 Depth=1
	s_or_saveexec_b64 s[4:5], s[6:7]
	v_mov_b32_e32 v9, s14
	v_mov_b32_e32 v8, v31
	s_xor_b64 exec, exec, s[4:5]
	s_cbranch_execz .LBB3_38
; %bb.37:                               ;   in Loop: Header=BB3_30 Depth=1
	buffer_load_dword v2, v31, s[0:3], 0 offen offset:4
	buffer_load_dword v3, v31, s[0:3], 0 offen
	v_add_u32_e32 v9, -8, v38
	s_waitcnt vmcnt(1)
	v_and_b32_e32 v8, 0xff, v2
	v_and_b32_e32 v12, 0xff00, v2
	s_waitcnt vmcnt(0)
	v_or3_b32 v3, v3, 0, 0
	v_and_b32_e32 v13, 0xff0000, v2
	v_and_b32_e32 v14, 0xff000000, v2
	v_or3_b32 v8, 0, v8, v12
	v_or3_b32 v2, v3, 0, 0
	;; [unrolled: 1-line block ×3, first 2 shown]
	v_add_u32_e32 v8, 8, v31
.LBB3_38:                               ;   in Loop: Header=BB3_30 Depth=1
	s_or_b64 exec, exec, s[4:5]
	v_cmp_gt_u32_e64 s[4:5], 8, v9
                                        ; implicit-def: $vgpr12_vgpr13
                                        ; implicit-def: $sgpr14
	s_and_saveexec_b64 s[6:7], s[4:5]
	s_xor_b64 s[6:7], exec, s[6:7]
	s_cbranch_execz .LBB3_44
; %bb.39:                               ;   in Loop: Header=BB3_30 Depth=1
	v_cmp_ne_u32_e64 s[4:5], 0, v9
	v_pk_mov_b32 v[12:13], 0, 0
	s_and_saveexec_b64 s[14:15], s[4:5]
	s_cbranch_execz .LBB3_43
; %bb.40:                               ;   in Loop: Header=BB3_30 Depth=1
	s_mov_b32 s22, 0
	s_mov_b64 s[16:17], 0
	v_pk_mov_b32 v[12:13], 0, 0
	s_mov_b64 s[18:19], 0
.LBB3_41:                               ;   Parent Loop BB3_30 Depth=1
                                        ; =>  This Inner Loop Header: Depth=2
	v_add_u32_e32 v14, s22, v8
	buffer_load_ubyte v14, v14, s[0:3], 0 offen
	v_mov_b32_e32 v15, s20
	s_add_i32 s22, s22, 1
	v_cmp_eq_u32_e64 s[4:5], s22, v9
	s_waitcnt vmcnt(0)
	v_and_b32_e32 v14, 0xffff, v14
	v_lshlrev_b64 v[14:15], s18, v[14:15]
	s_add_u32 s18, s18, 8
	s_addc_u32 s19, s19, 0
	v_or_b32_e32 v13, v15, v13
	s_or_b64 s[16:17], s[4:5], s[16:17]
	v_or_b32_e32 v12, v14, v12
	s_andn2_b64 exec, exec, s[16:17]
	s_cbranch_execnz .LBB3_41
; %bb.42:                               ;   in Loop: Header=BB3_30 Depth=1
	s_or_b64 exec, exec, s[16:17]
.LBB3_43:                               ;   in Loop: Header=BB3_30 Depth=1
	s_or_b64 exec, exec, s[14:15]
	s_mov_b32 s14, 0
                                        ; implicit-def: $vgpr9
.LBB3_44:                               ;   in Loop: Header=BB3_30 Depth=1
	s_or_saveexec_b64 s[4:5], s[6:7]
	v_mov_b32_e32 v16, s14
	s_xor_b64 exec, exec, s[4:5]
	s_cbranch_execz .LBB3_46
; %bb.45:                               ;   in Loop: Header=BB3_30 Depth=1
	buffer_load_dword v12, v8, s[0:3], 0 offen offset:4
	buffer_load_dword v13, v8, s[0:3], 0 offen
	v_add_u32_e32 v16, -8, v9
	v_add_u32_e32 v8, 8, v8
	s_waitcnt vmcnt(1)
	v_and_b32_e32 v9, 0xff, v12
	v_and_b32_e32 v14, 0xff00, v12
	s_waitcnt vmcnt(0)
	v_or3_b32 v13, v13, 0, 0
	v_and_b32_e32 v15, 0xff0000, v12
	v_and_b32_e32 v17, 0xff000000, v12
	v_or3_b32 v9, 0, v9, v14
	v_or3_b32 v12, v13, 0, 0
	;; [unrolled: 1-line block ×3, first 2 shown]
.LBB3_46:                               ;   in Loop: Header=BB3_30 Depth=1
	s_or_b64 exec, exec, s[4:5]
	v_cmp_gt_u32_e64 s[4:5], 8, v16
                                        ; implicit-def: $sgpr14
	s_and_saveexec_b64 s[6:7], s[4:5]
	s_xor_b64 s[6:7], exec, s[6:7]
	s_cbranch_execz .LBB3_52
; %bb.47:                               ;   in Loop: Header=BB3_30 Depth=1
	v_cmp_ne_u32_e64 s[4:5], 0, v16
	v_pk_mov_b32 v[14:15], 0, 0
	s_and_saveexec_b64 s[14:15], s[4:5]
	s_cbranch_execz .LBB3_51
; %bb.48:                               ;   in Loop: Header=BB3_30 Depth=1
	s_mov_b32 s22, 0
	s_mov_b64 s[16:17], 0
	v_pk_mov_b32 v[14:15], 0, 0
	s_mov_b64 s[18:19], 0
.LBB3_49:                               ;   Parent Loop BB3_30 Depth=1
                                        ; =>  This Inner Loop Header: Depth=2
	v_add_u32_e32 v9, s22, v8
	buffer_load_ubyte v9, v9, s[0:3], 0 offen
	v_mov_b32_e32 v19, s20
	s_add_i32 s22, s22, 1
	v_cmp_eq_u32_e64 s[4:5], s22, v16
	s_waitcnt vmcnt(0)
	v_and_b32_e32 v18, 0xffff, v9
	v_lshlrev_b64 v[18:19], s18, v[18:19]
	s_add_u32 s18, s18, 8
	s_addc_u32 s19, s19, 0
	v_or_b32_e32 v15, v19, v15
	s_or_b64 s[16:17], s[4:5], s[16:17]
	v_or_b32_e32 v14, v18, v14
	s_andn2_b64 exec, exec, s[16:17]
	s_cbranch_execnz .LBB3_49
; %bb.50:                               ;   in Loop: Header=BB3_30 Depth=1
	s_or_b64 exec, exec, s[16:17]
.LBB3_51:                               ;   in Loop: Header=BB3_30 Depth=1
	s_or_b64 exec, exec, s[14:15]
	s_mov_b32 s14, 0
                                        ; implicit-def: $vgpr16
.LBB3_52:                               ;   in Loop: Header=BB3_30 Depth=1
	s_or_saveexec_b64 s[4:5], s[6:7]
	v_mov_b32_e32 v9, s14
	s_xor_b64 exec, exec, s[4:5]
	s_cbranch_execz .LBB3_54
; %bb.53:                               ;   in Loop: Header=BB3_30 Depth=1
	buffer_load_dword v14, v8, s[0:3], 0 offen offset:4
	buffer_load_dword v15, v8, s[0:3], 0 offen
	v_add_u32_e32 v9, -8, v16
	v_add_u32_e32 v8, 8, v8
	s_waitcnt vmcnt(1)
	v_and_b32_e32 v16, 0xff, v14
	v_and_b32_e32 v17, 0xff00, v14
	s_waitcnt vmcnt(0)
	v_or3_b32 v15, v15, 0, 0
	v_and_b32_e32 v18, 0xff0000, v14
	v_and_b32_e32 v19, 0xff000000, v14
	v_or3_b32 v16, 0, v16, v17
	v_or3_b32 v14, v15, 0, 0
	v_or3_b32 v15, v16, v18, v19
.LBB3_54:                               ;   in Loop: Header=BB3_30 Depth=1
	s_or_b64 exec, exec, s[4:5]
	v_cmp_gt_u32_e64 s[4:5], 8, v9
                                        ; implicit-def: $vgpr16_vgpr17
                                        ; implicit-def: $sgpr14
	s_and_saveexec_b64 s[6:7], s[4:5]
	s_xor_b64 s[6:7], exec, s[6:7]
	s_cbranch_execz .LBB3_60
; %bb.55:                               ;   in Loop: Header=BB3_30 Depth=1
	v_cmp_ne_u32_e64 s[4:5], 0, v9
	v_pk_mov_b32 v[16:17], 0, 0
	s_and_saveexec_b64 s[14:15], s[4:5]
	s_cbranch_execz .LBB3_59
; %bb.56:                               ;   in Loop: Header=BB3_30 Depth=1
	s_mov_b32 s22, 0
	s_mov_b64 s[16:17], 0
	v_pk_mov_b32 v[16:17], 0, 0
	s_mov_b64 s[18:19], 0
.LBB3_57:                               ;   Parent Loop BB3_30 Depth=1
                                        ; =>  This Inner Loop Header: Depth=2
	v_add_u32_e32 v18, s22, v8
	buffer_load_ubyte v18, v18, s[0:3], 0 offen
	v_mov_b32_e32 v19, s20
	s_add_i32 s22, s22, 1
	v_cmp_eq_u32_e64 s[4:5], s22, v9
	s_waitcnt vmcnt(0)
	v_and_b32_e32 v18, 0xffff, v18
	v_lshlrev_b64 v[18:19], s18, v[18:19]
	s_add_u32 s18, s18, 8
	s_addc_u32 s19, s19, 0
	v_or_b32_e32 v17, v19, v17
	s_or_b64 s[16:17], s[4:5], s[16:17]
	v_or_b32_e32 v16, v18, v16
	s_andn2_b64 exec, exec, s[16:17]
	s_cbranch_execnz .LBB3_57
; %bb.58:                               ;   in Loop: Header=BB3_30 Depth=1
	s_or_b64 exec, exec, s[16:17]
.LBB3_59:                               ;   in Loop: Header=BB3_30 Depth=1
	s_or_b64 exec, exec, s[14:15]
	s_mov_b32 s14, 0
                                        ; implicit-def: $vgpr9
.LBB3_60:                               ;   in Loop: Header=BB3_30 Depth=1
	s_or_saveexec_b64 s[4:5], s[6:7]
	v_mov_b32_e32 v20, s14
	s_xor_b64 exec, exec, s[4:5]
	s_cbranch_execz .LBB3_62
; %bb.61:                               ;   in Loop: Header=BB3_30 Depth=1
	buffer_load_dword v16, v8, s[0:3], 0 offen offset:4
	buffer_load_dword v17, v8, s[0:3], 0 offen
	v_add_u32_e32 v20, -8, v9
	v_add_u32_e32 v8, 8, v8
	s_waitcnt vmcnt(1)
	v_and_b32_e32 v9, 0xff, v16
	v_and_b32_e32 v18, 0xff00, v16
	s_waitcnt vmcnt(0)
	v_or3_b32 v17, v17, 0, 0
	v_and_b32_e32 v19, 0xff0000, v16
	v_and_b32_e32 v21, 0xff000000, v16
	v_or3_b32 v9, 0, v9, v18
	v_or3_b32 v16, v17, 0, 0
	;; [unrolled: 1-line block ×3, first 2 shown]
.LBB3_62:                               ;   in Loop: Header=BB3_30 Depth=1
	s_or_b64 exec, exec, s[4:5]
	v_cmp_gt_u32_e64 s[4:5], 8, v20
                                        ; implicit-def: $sgpr14
	s_and_saveexec_b64 s[6:7], s[4:5]
	s_xor_b64 s[6:7], exec, s[6:7]
	s_cbranch_execz .LBB3_68
; %bb.63:                               ;   in Loop: Header=BB3_30 Depth=1
	v_cmp_ne_u32_e64 s[4:5], 0, v20
	v_pk_mov_b32 v[18:19], 0, 0
	s_and_saveexec_b64 s[14:15], s[4:5]
	s_cbranch_execz .LBB3_67
; %bb.64:                               ;   in Loop: Header=BB3_30 Depth=1
	s_mov_b32 s22, 0
	s_mov_b64 s[16:17], 0
	v_pk_mov_b32 v[18:19], 0, 0
	s_mov_b64 s[18:19], 0
.LBB3_65:                               ;   Parent Loop BB3_30 Depth=1
                                        ; =>  This Inner Loop Header: Depth=2
	v_add_u32_e32 v9, s22, v8
	buffer_load_ubyte v9, v9, s[0:3], 0 offen
	v_mov_b32_e32 v23, s20
	s_add_i32 s22, s22, 1
	v_cmp_eq_u32_e64 s[4:5], s22, v20
	s_waitcnt vmcnt(0)
	v_and_b32_e32 v22, 0xffff, v9
	v_lshlrev_b64 v[22:23], s18, v[22:23]
	s_add_u32 s18, s18, 8
	s_addc_u32 s19, s19, 0
	v_or_b32_e32 v19, v23, v19
	s_or_b64 s[16:17], s[4:5], s[16:17]
	v_or_b32_e32 v18, v22, v18
	s_andn2_b64 exec, exec, s[16:17]
	s_cbranch_execnz .LBB3_65
; %bb.66:                               ;   in Loop: Header=BB3_30 Depth=1
	s_or_b64 exec, exec, s[16:17]
.LBB3_67:                               ;   in Loop: Header=BB3_30 Depth=1
	s_or_b64 exec, exec, s[14:15]
	s_mov_b32 s14, 0
                                        ; implicit-def: $vgpr20
.LBB3_68:                               ;   in Loop: Header=BB3_30 Depth=1
	s_or_saveexec_b64 s[4:5], s[6:7]
	v_mov_b32_e32 v9, s14
	s_xor_b64 exec, exec, s[4:5]
	s_cbranch_execz .LBB3_70
; %bb.69:                               ;   in Loop: Header=BB3_30 Depth=1
	buffer_load_dword v18, v8, s[0:3], 0 offen offset:4
	buffer_load_dword v19, v8, s[0:3], 0 offen
	v_add_u32_e32 v9, -8, v20
	v_add_u32_e32 v8, 8, v8
	s_waitcnt vmcnt(1)
	v_and_b32_e32 v20, 0xff, v18
	v_and_b32_e32 v21, 0xff00, v18
	s_waitcnt vmcnt(0)
	v_or3_b32 v19, v19, 0, 0
	v_and_b32_e32 v22, 0xff0000, v18
	v_and_b32_e32 v23, 0xff000000, v18
	v_or3_b32 v20, 0, v20, v21
	v_or3_b32 v18, v19, 0, 0
	;; [unrolled: 1-line block ×3, first 2 shown]
.LBB3_70:                               ;   in Loop: Header=BB3_30 Depth=1
	s_or_b64 exec, exec, s[4:5]
	v_cmp_gt_u32_e64 s[4:5], 8, v9
                                        ; implicit-def: $vgpr20_vgpr21
                                        ; implicit-def: $sgpr14
	s_and_saveexec_b64 s[6:7], s[4:5]
	s_xor_b64 s[6:7], exec, s[6:7]
	s_cbranch_execz .LBB3_76
; %bb.71:                               ;   in Loop: Header=BB3_30 Depth=1
	v_cmp_ne_u32_e64 s[4:5], 0, v9
	v_pk_mov_b32 v[20:21], 0, 0
	s_and_saveexec_b64 s[14:15], s[4:5]
	s_cbranch_execz .LBB3_75
; %bb.72:                               ;   in Loop: Header=BB3_30 Depth=1
	s_mov_b32 s22, 0
	s_mov_b64 s[16:17], 0
	v_pk_mov_b32 v[20:21], 0, 0
	s_mov_b64 s[18:19], 0
.LBB3_73:                               ;   Parent Loop BB3_30 Depth=1
                                        ; =>  This Inner Loop Header: Depth=2
	v_add_u32_e32 v22, s22, v8
	buffer_load_ubyte v22, v22, s[0:3], 0 offen
	v_mov_b32_e32 v23, s20
	s_add_i32 s22, s22, 1
	v_cmp_eq_u32_e64 s[4:5], s22, v9
	s_waitcnt vmcnt(0)
	v_and_b32_e32 v22, 0xffff, v22
	v_lshlrev_b64 v[22:23], s18, v[22:23]
	s_add_u32 s18, s18, 8
	s_addc_u32 s19, s19, 0
	v_or_b32_e32 v21, v23, v21
	s_or_b64 s[16:17], s[4:5], s[16:17]
	v_or_b32_e32 v20, v22, v20
	s_andn2_b64 exec, exec, s[16:17]
	s_cbranch_execnz .LBB3_73
; %bb.74:                               ;   in Loop: Header=BB3_30 Depth=1
	s_or_b64 exec, exec, s[16:17]
.LBB3_75:                               ;   in Loop: Header=BB3_30 Depth=1
	s_or_b64 exec, exec, s[14:15]
	s_mov_b32 s14, 0
                                        ; implicit-def: $vgpr9
.LBB3_76:                               ;   in Loop: Header=BB3_30 Depth=1
	s_or_saveexec_b64 s[4:5], s[6:7]
	v_mov_b32_e32 v24, s14
	s_xor_b64 exec, exec, s[4:5]
	s_cbranch_execz .LBB3_78
; %bb.77:                               ;   in Loop: Header=BB3_30 Depth=1
	buffer_load_dword v20, v8, s[0:3], 0 offen offset:4
	buffer_load_dword v21, v8, s[0:3], 0 offen
	v_add_u32_e32 v24, -8, v9
	v_add_u32_e32 v8, 8, v8
	s_waitcnt vmcnt(1)
	v_and_b32_e32 v9, 0xff, v20
	v_and_b32_e32 v22, 0xff00, v20
	s_waitcnt vmcnt(0)
	v_or3_b32 v21, v21, 0, 0
	v_and_b32_e32 v23, 0xff0000, v20
	v_and_b32_e32 v25, 0xff000000, v20
	v_or3_b32 v9, 0, v9, v22
	v_or3_b32 v20, v21, 0, 0
	;; [unrolled: 1-line block ×3, first 2 shown]
.LBB3_78:                               ;   in Loop: Header=BB3_30 Depth=1
	s_or_b64 exec, exec, s[4:5]
	v_cmp_gt_u32_e64 s[4:5], 8, v24
	s_and_saveexec_b64 s[6:7], s[4:5]
	s_xor_b64 s[6:7], exec, s[6:7]
	s_cbranch_execz .LBB3_84
; %bb.79:                               ;   in Loop: Header=BB3_30 Depth=1
	v_cmp_ne_u32_e64 s[4:5], 0, v24
	v_pk_mov_b32 v[22:23], 0, 0
	s_and_saveexec_b64 s[14:15], s[4:5]
	s_cbranch_execz .LBB3_83
; %bb.80:                               ;   in Loop: Header=BB3_30 Depth=1
	s_mov_b64 s[16:17], 0
	v_pk_mov_b32 v[22:23], 0, 0
	s_mov_b64 s[18:19], 0
.LBB3_81:                               ;   Parent Loop BB3_30 Depth=1
                                        ; =>  This Inner Loop Header: Depth=2
	buffer_load_ubyte v9, v8, s[0:3], 0 offen
	v_mov_b32_e32 v27, s20
	v_add_u32_e32 v24, -1, v24
	v_cmp_eq_u32_e64 s[4:5], 0, v24
	v_add_u32_e32 v8, 1, v8
	s_waitcnt vmcnt(0)
	v_and_b32_e32 v26, 0xffff, v9
	v_lshlrev_b64 v[26:27], s18, v[26:27]
	s_add_u32 s18, s18, 8
	s_addc_u32 s19, s19, 0
	v_or_b32_e32 v23, v27, v23
	s_or_b64 s[16:17], s[4:5], s[16:17]
	v_or_b32_e32 v22, v26, v22
	s_andn2_b64 exec, exec, s[16:17]
	s_cbranch_execnz .LBB3_81
; %bb.82:                               ;   in Loop: Header=BB3_30 Depth=1
	s_or_b64 exec, exec, s[16:17]
.LBB3_83:                               ;   in Loop: Header=BB3_30 Depth=1
	s_or_b64 exec, exec, s[14:15]
                                        ; implicit-def: $vgpr8
.LBB3_84:                               ;   in Loop: Header=BB3_30 Depth=1
	s_andn2_saveexec_b64 s[4:5], s[6:7]
	s_cbranch_execz .LBB3_86
; %bb.85:                               ;   in Loop: Header=BB3_30 Depth=1
	buffer_load_dword v9, v8, s[0:3], 0 offen offset:4
	buffer_load_dword v22, v8, s[0:3], 0 offen
	s_waitcnt vmcnt(1)
	v_and_b32_e32 v8, 0xff, v9
	v_and_b32_e32 v23, 0xff00, v9
	s_waitcnt vmcnt(0)
	v_or3_b32 v22, v22, 0, 0
	v_and_b32_e32 v24, 0xff0000, v9
	v_and_b32_e32 v9, 0xff000000, v9
	v_or3_b32 v8, 0, v8, v23
	v_or3_b32 v23, v8, v24, v9
	;; [unrolled: 1-line block ×3, first 2 shown]
.LBB3_86:                               ;   in Loop: Header=BB3_30 Depth=1
	s_or_b64 exec, exec, s[4:5]
	v_readfirstlane_b32 s4, v37
	v_cmp_eq_u32_e64 s[4:5], s4, v37
	v_pk_mov_b32 v[8:9], 0, 0
	s_and_saveexec_b64 s[14:15], s[4:5]
	s_cbranch_execz .LBB3_92
; %bb.87:                               ;   in Loop: Header=BB3_30 Depth=1
	global_load_dwordx2 v[26:27], v33, s[10:11] offset:24 glc
	s_waitcnt vmcnt(0)
	buffer_invl2
	buffer_wbinvl1_vol
	global_load_dwordx2 v[8:9], v33, s[10:11] offset:40
	global_load_dwordx2 v[24:25], v33, s[10:11]
	s_waitcnt vmcnt(1)
	v_and_b32_e32 v8, v8, v26
	v_and_b32_e32 v9, v9, v27
	v_mul_lo_u32 v9, v9, 24
	v_mul_hi_u32 v32, v8, 24
	v_mul_lo_u32 v8, v8, 24
	v_add_u32_e32 v9, v32, v9
	s_waitcnt vmcnt(0)
	v_add_co_u32_e64 v8, s[6:7], v24, v8
	v_addc_co_u32_e64 v9, s[6:7], v25, v9, s[6:7]
	global_load_dwordx2 v[24:25], v[8:9], off glc
	s_waitcnt vmcnt(0)
	global_atomic_cmpswap_x2 v[8:9], v33, v[24:27], s[10:11] offset:24 glc
	s_waitcnt vmcnt(0)
	buffer_invl2
	buffer_wbinvl1_vol
	v_cmp_ne_u64_e64 s[6:7], v[8:9], v[26:27]
	s_and_saveexec_b64 s[16:17], s[6:7]
	s_cbranch_execz .LBB3_91
; %bb.88:                               ;   in Loop: Header=BB3_30 Depth=1
	s_mov_b64 s[18:19], 0
.LBB3_89:                               ;   Parent Loop BB3_30 Depth=1
                                        ; =>  This Inner Loop Header: Depth=2
	s_sleep 1
	global_load_dwordx2 v[24:25], v33, s[10:11] offset:40
	global_load_dwordx2 v[34:35], v33, s[10:11]
	v_pk_mov_b32 v[26:27], v[8:9], v[8:9] op_sel:[0,1]
	s_waitcnt vmcnt(1)
	v_and_b32_e32 v8, v24, v26
	s_waitcnt vmcnt(0)
	v_mad_u64_u32 v[8:9], s[6:7], v8, 24, v[34:35]
	v_and_b32_e32 v25, v25, v27
	v_mov_b32_e32 v24, v9
	v_mad_u64_u32 v[24:25], s[6:7], v25, 24, v[24:25]
	v_mov_b32_e32 v9, v24
	global_load_dwordx2 v[24:25], v[8:9], off glc
	s_waitcnt vmcnt(0)
	global_atomic_cmpswap_x2 v[8:9], v33, v[24:27], s[10:11] offset:24 glc
	s_waitcnt vmcnt(0)
	buffer_invl2
	buffer_wbinvl1_vol
	v_cmp_eq_u64_e64 s[6:7], v[8:9], v[26:27]
	s_or_b64 s[18:19], s[6:7], s[18:19]
	s_andn2_b64 exec, exec, s[18:19]
	s_cbranch_execnz .LBB3_89
; %bb.90:                               ;   in Loop: Header=BB3_30 Depth=1
	s_or_b64 exec, exec, s[18:19]
.LBB3_91:                               ;   in Loop: Header=BB3_30 Depth=1
	s_or_b64 exec, exec, s[16:17]
.LBB3_92:                               ;   in Loop: Header=BB3_30 Depth=1
	s_or_b64 exec, exec, s[14:15]
	global_load_dwordx2 v[34:35], v33, s[10:11] offset:40
	global_load_dwordx4 v[24:27], v33, s[10:11]
	v_readfirstlane_b32 s14, v8
	v_readfirstlane_b32 s15, v9
	s_mov_b64 s[16:17], exec
	s_waitcnt vmcnt(1)
	v_readfirstlane_b32 s6, v34
	v_readfirstlane_b32 s7, v35
	s_and_b64 s[18:19], s[14:15], s[6:7]
	s_mul_i32 s6, s19, 24
	s_mul_hi_u32 s7, s18, 24
	s_mul_i32 s22, s18, 24
	s_add_i32 s6, s7, s6
	v_mov_b32_e32 v8, s6
	s_waitcnt vmcnt(0)
	v_add_co_u32_e64 v34, s[6:7], s22, v24
	v_addc_co_u32_e64 v35, s[6:7], v25, v8, s[6:7]
	s_and_saveexec_b64 s[6:7], s[4:5]
	s_cbranch_execz .LBB3_94
; %bb.93:                               ;   in Loop: Header=BB3_30 Depth=1
	v_pk_mov_b32 v[8:9], s[16:17], s[16:17] op_sel:[0,1]
	global_store_dwordx4 v[34:35], v[8:11], off offset:8
.LBB3_94:                               ;   in Loop: Header=BB3_30 Depth=1
	s_or_b64 exec, exec, s[6:7]
	s_lshl_b64 s[6:7], s[18:19], 12
	v_cndmask_b32_e32 v39, 0, v29, vcc
	v_mov_b32_e32 v9, s7
	v_add_co_u32_e32 v8, vcc, s6, v26
	v_addc_co_u32_e32 v9, vcc, v27, v9, vcc
	v_or_b32_e32 v26, 0, v1
	v_cmp_lt_u64_e32 vcc, 56, v[28:29]
	v_or_b32_e32 v27, v0, v30
	v_cndmask_b32_e32 v1, v26, v1, vcc
	v_lshl_add_u32 v26, v38, 2, 28
	v_cndmask_b32_e32 v0, v27, v0, vcc
	v_and_b32_e32 v26, 0x1e0, v26
	v_and_or_b32 v0, v0, s21, v26
	v_readfirstlane_b32 s6, v8
	v_readfirstlane_b32 s7, v9
	s_nop 4
	global_store_dwordx4 v36, v[0:3], s[6:7]
	global_store_dwordx4 v36, v[12:15], s[6:7] offset:16
	global_store_dwordx4 v36, v[16:19], s[6:7] offset:32
	;; [unrolled: 1-line block ×3, first 2 shown]
	s_and_saveexec_b64 s[6:7], s[4:5]
	s_cbranch_execz .LBB3_102
; %bb.95:                               ;   in Loop: Header=BB3_30 Depth=1
	global_load_dwordx2 v[16:17], v33, s[10:11] offset:32 glc
	global_load_dwordx2 v[0:1], v33, s[10:11] offset:40
	v_mov_b32_e32 v14, s14
	v_mov_b32_e32 v15, s15
	s_waitcnt vmcnt(0)
	v_readfirstlane_b32 s16, v0
	v_readfirstlane_b32 s17, v1
	s_and_b64 s[16:17], s[16:17], s[14:15]
	s_mul_i32 s17, s17, 24
	s_mul_hi_u32 s18, s16, 24
	s_mul_i32 s16, s16, 24
	s_add_i32 s17, s18, s17
	v_mov_b32_e32 v0, s17
	v_add_co_u32_e32 v12, vcc, s16, v24
	v_addc_co_u32_e32 v13, vcc, v25, v0, vcc
	global_store_dwordx2 v[12:13], v[16:17], off
	buffer_wbl2
	s_waitcnt vmcnt(0)
	global_atomic_cmpswap_x2 v[2:3], v33, v[14:17], s[10:11] offset:32 glc
	s_waitcnt vmcnt(0)
	v_cmp_ne_u64_e32 vcc, v[2:3], v[16:17]
	s_and_saveexec_b64 s[16:17], vcc
	s_cbranch_execz .LBB3_98
; %bb.96:                               ;   in Loop: Header=BB3_30 Depth=1
	s_mov_b64 s[18:19], 0
.LBB3_97:                               ;   Parent Loop BB3_30 Depth=1
                                        ; =>  This Inner Loop Header: Depth=2
	s_sleep 1
	global_store_dwordx2 v[12:13], v[2:3], off
	v_mov_b32_e32 v0, s14
	v_mov_b32_e32 v1, s15
	buffer_wbl2
	s_waitcnt vmcnt(0)
	global_atomic_cmpswap_x2 v[0:1], v33, v[0:3], s[10:11] offset:32 glc
	s_waitcnt vmcnt(0)
	v_cmp_eq_u64_e32 vcc, v[0:1], v[2:3]
	s_or_b64 s[18:19], vcc, s[18:19]
	v_pk_mov_b32 v[2:3], v[0:1], v[0:1] op_sel:[0,1]
	s_andn2_b64 exec, exec, s[18:19]
	s_cbranch_execnz .LBB3_97
.LBB3_98:                               ;   in Loop: Header=BB3_30 Depth=1
	s_or_b64 exec, exec, s[16:17]
	global_load_dwordx2 v[0:1], v33, s[10:11] offset:16
	s_mov_b64 s[18:19], exec
	v_mbcnt_lo_u32_b32 v2, s18, 0
	v_mbcnt_hi_u32_b32 v2, s19, v2
	v_cmp_eq_u32_e32 vcc, 0, v2
	s_and_saveexec_b64 s[16:17], vcc
	s_cbranch_execz .LBB3_100
; %bb.99:                               ;   in Loop: Header=BB3_30 Depth=1
	s_bcnt1_i32_b64 s18, s[18:19]
	v_mov_b32_e32 v32, s18
	buffer_wbl2
	s_waitcnt vmcnt(0)
	global_atomic_add_x2 v[0:1], v[32:33], off offset:8
.LBB3_100:                              ;   in Loop: Header=BB3_30 Depth=1
	s_or_b64 exec, exec, s[16:17]
	s_waitcnt vmcnt(0)
	global_load_dwordx2 v[2:3], v[0:1], off offset:16
	s_waitcnt vmcnt(0)
	v_cmp_eq_u64_e32 vcc, 0, v[2:3]
	s_cbranch_vccnz .LBB3_102
; %bb.101:                              ;   in Loop: Header=BB3_30 Depth=1
	global_load_dword v32, v[0:1], off offset:24
	s_waitcnt vmcnt(0)
	v_and_b32_e32 v0, 0xffffff, v32
	v_readfirstlane_b32 m0, v0
	buffer_wbl2
	global_store_dwordx2 v[2:3], v[32:33], off
	s_sendmsg sendmsg(MSG_INTERRUPT)
.LBB3_102:                              ;   in Loop: Header=BB3_30 Depth=1
	s_or_b64 exec, exec, s[6:7]
	v_add_co_u32_e32 v0, vcc, v8, v36
	v_addc_co_u32_e32 v1, vcc, 0, v9, vcc
	s_branch .LBB3_106
.LBB3_103:                              ;   in Loop: Header=BB3_106 Depth=2
	s_or_b64 exec, exec, s[6:7]
	v_readfirstlane_b32 s6, v2
	s_cmp_eq_u32 s6, 0
	s_cbranch_scc1 .LBB3_105
; %bb.104:                              ;   in Loop: Header=BB3_106 Depth=2
	s_sleep 1
	s_cbranch_execnz .LBB3_106
	s_branch .LBB3_108
.LBB3_105:                              ;   in Loop: Header=BB3_30 Depth=1
	s_branch .LBB3_108
.LBB3_106:                              ;   Parent Loop BB3_30 Depth=1
                                        ; =>  This Inner Loop Header: Depth=2
	v_mov_b32_e32 v2, 1
	s_and_saveexec_b64 s[6:7], s[4:5]
	s_cbranch_execz .LBB3_103
; %bb.107:                              ;   in Loop: Header=BB3_106 Depth=2
	global_load_dword v2, v[34:35], off offset:20 glc
	s_waitcnt vmcnt(0)
	buffer_invl2
	buffer_wbinvl1_vol
	v_and_b32_e32 v2, 1, v2
	s_branch .LBB3_103
.LBB3_108:                              ;   in Loop: Header=BB3_30 Depth=1
	global_load_dwordx4 v[0:3], v[0:1], off
	s_and_saveexec_b64 s[6:7], s[4:5]
	s_cbranch_execz .LBB3_29
; %bb.109:                              ;   in Loop: Header=BB3_30 Depth=1
	global_load_dwordx2 v[2:3], v33, s[10:11] offset:40
	global_load_dwordx2 v[8:9], v33, s[10:11] offset:24 glc
	global_load_dwordx2 v[16:17], v33, s[10:11]
	v_mov_b32_e32 v13, s15
	s_waitcnt vmcnt(2)
	v_add_co_u32_e32 v15, vcc, 1, v2
	v_addc_co_u32_e32 v18, vcc, 0, v3, vcc
	v_add_co_u32_e32 v12, vcc, s14, v15
	v_addc_co_u32_e32 v13, vcc, v18, v13, vcc
	v_cmp_eq_u64_e32 vcc, 0, v[12:13]
	v_cndmask_b32_e32 v13, v13, v18, vcc
	v_cndmask_b32_e32 v12, v12, v15, vcc
	v_and_b32_e32 v3, v13, v3
	v_and_b32_e32 v2, v12, v2
	v_mul_lo_u32 v3, v3, 24
	v_mul_hi_u32 v15, v2, 24
	v_mul_lo_u32 v2, v2, 24
	v_add_u32_e32 v3, v15, v3
	s_waitcnt vmcnt(0)
	v_add_co_u32_e32 v2, vcc, v16, v2
	v_addc_co_u32_e32 v3, vcc, v17, v3, vcc
	v_mov_b32_e32 v14, v8
	global_store_dwordx2 v[2:3], v[8:9], off
	v_mov_b32_e32 v15, v9
	buffer_wbl2
	s_waitcnt vmcnt(0)
	global_atomic_cmpswap_x2 v[14:15], v33, v[12:15], s[10:11] offset:24 glc
	s_waitcnt vmcnt(0)
	v_cmp_ne_u64_e32 vcc, v[14:15], v[8:9]
	s_and_b64 exec, exec, vcc
	s_cbranch_execz .LBB3_29
; %bb.110:                              ;   in Loop: Header=BB3_30 Depth=1
	s_mov_b64 s[4:5], 0
.LBB3_111:                              ;   Parent Loop BB3_30 Depth=1
                                        ; =>  This Inner Loop Header: Depth=2
	s_sleep 1
	global_store_dwordx2 v[2:3], v[14:15], off
	buffer_wbl2
	s_waitcnt vmcnt(0)
	global_atomic_cmpswap_x2 v[8:9], v33, v[12:15], s[10:11] offset:24 glc
	s_waitcnt vmcnt(0)
	v_cmp_eq_u64_e32 vcc, v[8:9], v[14:15]
	s_or_b64 s[4:5], vcc, s[4:5]
	v_pk_mov_b32 v[14:15], v[8:9], v[8:9] op_sel:[0,1]
	s_andn2_b64 exec, exec, s[4:5]
	s_cbranch_execnz .LBB3_111
	s_branch .LBB3_29
.LBB3_112:
                                        ; implicit-def: $vgpr0_vgpr1
	s_cbranch_execnz .LBB3_114
	s_branch .LBB3_140
.LBB3_113:
	s_or_b64 exec, exec, s[12:13]
	s_branch .LBB3_140
.LBB3_114:
	v_readfirstlane_b32 s4, v37
	v_cmp_eq_u32_e64 s[4:5], s4, v37
	v_pk_mov_b32 v[10:11], 0, 0
	s_and_saveexec_b64 s[6:7], s[4:5]
	s_cbranch_execz .LBB3_120
; %bb.115:
	s_waitcnt vmcnt(0)
	v_mov_b32_e32 v0, 0
	global_load_dwordx2 v[12:13], v0, s[10:11] offset:24 glc
	s_waitcnt vmcnt(0)
	buffer_invl2
	buffer_wbinvl1_vol
	global_load_dwordx2 v[2:3], v0, s[10:11] offset:40
	global_load_dwordx2 v[8:9], v0, s[10:11]
	s_waitcnt vmcnt(1)
	v_and_b32_e32 v1, v2, v12
	v_and_b32_e32 v2, v3, v13
	v_mul_lo_u32 v2, v2, 24
	v_mul_hi_u32 v3, v1, 24
	v_mul_lo_u32 v1, v1, 24
	v_add_u32_e32 v3, v3, v2
	s_waitcnt vmcnt(0)
	v_add_co_u32_e32 v2, vcc, v8, v1
	v_addc_co_u32_e32 v3, vcc, v9, v3, vcc
	global_load_dwordx2 v[10:11], v[2:3], off glc
	s_waitcnt vmcnt(0)
	global_atomic_cmpswap_x2 v[10:11], v0, v[10:13], s[10:11] offset:24 glc
	s_waitcnt vmcnt(0)
	buffer_invl2
	buffer_wbinvl1_vol
	v_cmp_ne_u64_e32 vcc, v[10:11], v[12:13]
	s_and_saveexec_b64 s[12:13], vcc
	s_cbranch_execz .LBB3_119
; %bb.116:
	s_mov_b64 s[14:15], 0
.LBB3_117:                              ; =>This Inner Loop Header: Depth=1
	s_sleep 1
	global_load_dwordx2 v[2:3], v0, s[10:11] offset:40
	global_load_dwordx2 v[8:9], v0, s[10:11]
	v_pk_mov_b32 v[12:13], v[10:11], v[10:11] op_sel:[0,1]
	s_waitcnt vmcnt(1)
	v_and_b32_e32 v2, v2, v12
	v_and_b32_e32 v1, v3, v13
	s_waitcnt vmcnt(0)
	v_mad_u64_u32 v[2:3], s[16:17], v2, 24, v[8:9]
	v_mov_b32_e32 v8, v3
	v_mad_u64_u32 v[8:9], s[16:17], v1, 24, v[8:9]
	v_mov_b32_e32 v3, v8
	global_load_dwordx2 v[10:11], v[2:3], off glc
	s_waitcnt vmcnt(0)
	global_atomic_cmpswap_x2 v[10:11], v0, v[10:13], s[10:11] offset:24 glc
	s_waitcnt vmcnt(0)
	buffer_invl2
	buffer_wbinvl1_vol
	v_cmp_eq_u64_e32 vcc, v[10:11], v[12:13]
	s_or_b64 s[14:15], vcc, s[14:15]
	s_andn2_b64 exec, exec, s[14:15]
	s_cbranch_execnz .LBB3_117
; %bb.118:
	s_or_b64 exec, exec, s[14:15]
.LBB3_119:
	s_or_b64 exec, exec, s[12:13]
.LBB3_120:
	s_or_b64 exec, exec, s[6:7]
	v_mov_b32_e32 v8, 0
	global_load_dwordx2 v[12:13], v8, s[10:11] offset:40
	global_load_dwordx4 v[0:3], v8, s[10:11]
	v_readfirstlane_b32 s6, v10
	v_readfirstlane_b32 s7, v11
	s_mov_b64 s[12:13], exec
	s_waitcnt vmcnt(1)
	v_readfirstlane_b32 s14, v12
	v_readfirstlane_b32 s15, v13
	s_and_b64 s[14:15], s[6:7], s[14:15]
	s_mul_i32 s16, s15, 24
	s_mul_hi_u32 s17, s14, 24
	s_mul_i32 s18, s14, 24
	s_add_i32 s16, s17, s16
	v_mov_b32_e32 v9, s16
	s_waitcnt vmcnt(0)
	v_add_co_u32_e32 v10, vcc, s18, v0
	v_addc_co_u32_e32 v11, vcc, v1, v9, vcc
	s_and_saveexec_b64 s[16:17], s[4:5]
	s_cbranch_execz .LBB3_122
; %bb.121:
	v_pk_mov_b32 v[12:13], s[12:13], s[12:13] op_sel:[0,1]
	v_mov_b32_e32 v14, 2
	v_mov_b32_e32 v15, 1
	global_store_dwordx4 v[10:11], v[12:15], off offset:8
.LBB3_122:
	s_or_b64 exec, exec, s[16:17]
	s_lshl_b64 s[12:13], s[14:15], 12
	v_mov_b32_e32 v9, s13
	v_add_co_u32_e32 v2, vcc, s12, v2
	s_movk_i32 s12, 0xff1f
	v_addc_co_u32_e32 v3, vcc, v3, v9, vcc
	v_and_or_b32 v6, v6, s12, 32
	s_mov_b32 s12, 0
	v_mov_b32_e32 v9, v8
	v_readfirstlane_b32 s16, v2
	v_readfirstlane_b32 s17, v3
	s_mov_b32 s13, s12
	v_add_co_u32_e32 v12, vcc, v2, v36
	s_mov_b32 s14, s12
	s_mov_b32 s15, s12
	s_nop 0
	global_store_dwordx4 v36, v[6:9], s[16:17]
	v_addc_co_u32_e32 v13, vcc, 0, v3, vcc
	v_pk_mov_b32 v[6:7], s[12:13], s[12:13] op_sel:[0,1]
	v_pk_mov_b32 v[8:9], s[14:15], s[14:15] op_sel:[0,1]
	global_store_dwordx4 v36, v[6:9], s[16:17] offset:16
	global_store_dwordx4 v36, v[6:9], s[16:17] offset:32
	global_store_dwordx4 v36, v[6:9], s[16:17] offset:48
	s_and_saveexec_b64 s[12:13], s[4:5]
	s_cbranch_execz .LBB3_130
; %bb.123:
	v_mov_b32_e32 v8, 0
	global_load_dwordx2 v[16:17], v8, s[10:11] offset:32 glc
	global_load_dwordx2 v[2:3], v8, s[10:11] offset:40
	v_mov_b32_e32 v14, s6
	v_mov_b32_e32 v15, s7
	s_waitcnt vmcnt(0)
	v_readfirstlane_b32 s14, v2
	v_readfirstlane_b32 s15, v3
	s_and_b64 s[14:15], s[14:15], s[6:7]
	s_mul_i32 s15, s15, 24
	s_mul_hi_u32 s16, s14, 24
	s_mul_i32 s14, s14, 24
	s_add_i32 s15, s16, s15
	v_mov_b32_e32 v2, s15
	v_add_co_u32_e32 v6, vcc, s14, v0
	v_addc_co_u32_e32 v7, vcc, v1, v2, vcc
	global_store_dwordx2 v[6:7], v[16:17], off
	buffer_wbl2
	s_waitcnt vmcnt(0)
	global_atomic_cmpswap_x2 v[2:3], v8, v[14:17], s[10:11] offset:32 glc
	s_waitcnt vmcnt(0)
	v_cmp_ne_u64_e32 vcc, v[2:3], v[16:17]
	s_and_saveexec_b64 s[14:15], vcc
	s_cbranch_execz .LBB3_126
; %bb.124:
	s_mov_b64 s[16:17], 0
.LBB3_125:                              ; =>This Inner Loop Header: Depth=1
	s_sleep 1
	global_store_dwordx2 v[6:7], v[2:3], off
	v_mov_b32_e32 v0, s6
	v_mov_b32_e32 v1, s7
	buffer_wbl2
	s_waitcnt vmcnt(0)
	global_atomic_cmpswap_x2 v[0:1], v8, v[0:3], s[10:11] offset:32 glc
	s_waitcnt vmcnt(0)
	v_cmp_eq_u64_e32 vcc, v[0:1], v[2:3]
	s_or_b64 s[16:17], vcc, s[16:17]
	v_pk_mov_b32 v[2:3], v[0:1], v[0:1] op_sel:[0,1]
	s_andn2_b64 exec, exec, s[16:17]
	s_cbranch_execnz .LBB3_125
.LBB3_126:
	s_or_b64 exec, exec, s[14:15]
	v_mov_b32_e32 v3, 0
	global_load_dwordx2 v[0:1], v3, s[10:11] offset:16
	s_mov_b64 s[14:15], exec
	v_mbcnt_lo_u32_b32 v2, s14, 0
	v_mbcnt_hi_u32_b32 v2, s15, v2
	v_cmp_eq_u32_e32 vcc, 0, v2
	s_and_saveexec_b64 s[16:17], vcc
	s_cbranch_execz .LBB3_128
; %bb.127:
	s_bcnt1_i32_b64 s14, s[14:15]
	v_mov_b32_e32 v2, s14
	buffer_wbl2
	s_waitcnt vmcnt(0)
	global_atomic_add_x2 v[0:1], v[2:3], off offset:8
.LBB3_128:
	s_or_b64 exec, exec, s[16:17]
	s_waitcnt vmcnt(0)
	global_load_dwordx2 v[2:3], v[0:1], off offset:16
	s_waitcnt vmcnt(0)
	v_cmp_eq_u64_e32 vcc, 0, v[2:3]
	s_cbranch_vccnz .LBB3_130
; %bb.129:
	global_load_dword v0, v[0:1], off offset:24
	v_mov_b32_e32 v1, 0
	buffer_wbl2
	s_waitcnt vmcnt(0)
	global_store_dwordx2 v[2:3], v[0:1], off
	v_and_b32_e32 v0, 0xffffff, v0
	v_readfirstlane_b32 m0, v0
	s_sendmsg sendmsg(MSG_INTERRUPT)
.LBB3_130:
	s_or_b64 exec, exec, s[12:13]
	s_branch .LBB3_134
.LBB3_131:                              ;   in Loop: Header=BB3_134 Depth=1
	s_or_b64 exec, exec, s[12:13]
	v_readfirstlane_b32 s12, v0
	s_cmp_eq_u32 s12, 0
	s_cbranch_scc1 .LBB3_133
; %bb.132:                              ;   in Loop: Header=BB3_134 Depth=1
	s_sleep 1
	s_cbranch_execnz .LBB3_134
	s_branch .LBB3_136
.LBB3_133:
	s_branch .LBB3_136
.LBB3_134:                              ; =>This Inner Loop Header: Depth=1
	v_mov_b32_e32 v0, 1
	s_and_saveexec_b64 s[12:13], s[4:5]
	s_cbranch_execz .LBB3_131
; %bb.135:                              ;   in Loop: Header=BB3_134 Depth=1
	global_load_dword v0, v[10:11], off offset:20 glc
	s_waitcnt vmcnt(0)
	buffer_invl2
	buffer_wbinvl1_vol
	v_and_b32_e32 v0, 1, v0
	s_branch .LBB3_131
.LBB3_136:
	global_load_dwordx2 v[0:1], v[12:13], off
	s_and_saveexec_b64 s[12:13], s[4:5]
	s_cbranch_execz .LBB3_139
; %bb.137:
	v_mov_b32_e32 v10, 0
	global_load_dwordx2 v[2:3], v10, s[10:11] offset:40
	global_load_dwordx2 v[12:13], v10, s[10:11] offset:24 glc
	global_load_dwordx2 v[14:15], v10, s[10:11]
	v_mov_b32_e32 v7, s7
	s_mov_b64 s[4:5], 0
	s_waitcnt vmcnt(2)
	v_add_co_u32_e32 v9, vcc, 1, v2
	v_addc_co_u32_e32 v11, vcc, 0, v3, vcc
	v_add_co_u32_e32 v6, vcc, s6, v9
	v_addc_co_u32_e32 v7, vcc, v11, v7, vcc
	v_cmp_eq_u64_e32 vcc, 0, v[6:7]
	v_cndmask_b32_e32 v7, v7, v11, vcc
	v_cndmask_b32_e32 v6, v6, v9, vcc
	v_and_b32_e32 v3, v7, v3
	v_and_b32_e32 v2, v6, v2
	v_mul_lo_u32 v3, v3, 24
	v_mul_hi_u32 v9, v2, 24
	v_mul_lo_u32 v2, v2, 24
	v_add_u32_e32 v3, v9, v3
	s_waitcnt vmcnt(0)
	v_add_co_u32_e32 v2, vcc, v14, v2
	v_addc_co_u32_e32 v3, vcc, v15, v3, vcc
	v_mov_b32_e32 v8, v12
	global_store_dwordx2 v[2:3], v[12:13], off
	v_mov_b32_e32 v9, v13
	buffer_wbl2
	s_waitcnt vmcnt(0)
	global_atomic_cmpswap_x2 v[8:9], v10, v[6:9], s[10:11] offset:24 glc
	s_waitcnt vmcnt(0)
	v_cmp_ne_u64_e32 vcc, v[8:9], v[12:13]
	s_and_b64 exec, exec, vcc
	s_cbranch_execz .LBB3_139
.LBB3_138:                              ; =>This Inner Loop Header: Depth=1
	s_sleep 1
	global_store_dwordx2 v[2:3], v[8:9], off
	buffer_wbl2
	s_waitcnt vmcnt(0)
	global_atomic_cmpswap_x2 v[12:13], v10, v[6:9], s[10:11] offset:24 glc
	s_waitcnt vmcnt(0)
	v_cmp_eq_u64_e32 vcc, v[12:13], v[8:9]
	s_or_b64 s[4:5], vcc, s[4:5]
	v_pk_mov_b32 v[8:9], v[12:13], v[12:13] op_sel:[0,1]
	s_andn2_b64 exec, exec, s[4:5]
	s_cbranch_execnz .LBB3_138
.LBB3_139:
	s_or_b64 exec, exec, s[12:13]
.LBB3_140:
	s_getpc_b64 s[6:7]
	s_add_u32 s6, s6, .str.3@rel32@lo+4
	s_addc_u32 s7, s7, .str.3@rel32@hi+12
	s_cmp_lg_u64 s[6:7], 0
	s_cbranch_scc0 .LBB3_224
; %bb.141:
	s_getpc_b64 s[4:5]
	s_add_u32 s4, s4, .str.3@rel32@lo+80
	s_addc_u32 s5, s5, .str.3@rel32@hi+88
	s_sub_i32 s12, s4, s6
	s_ashr_i32 s13, s12, 31
	s_waitcnt vmcnt(0)
	v_and_b32_e32 v2, 2, v0
	v_mov_b32_e32 v33, 0
	v_and_b32_e32 v6, -3, v0
	v_mov_b32_e32 v7, v1
	v_mov_b32_e32 v10, 2
	;; [unrolled: 1-line block ×3, first 2 shown]
	s_branch .LBB3_143
.LBB3_142:                              ;   in Loop: Header=BB3_143 Depth=1
	s_or_b64 exec, exec, s[18:19]
	s_sub_u32 s12, s12, s14
	s_subb_u32 s13, s13, s15
	s_add_u32 s6, s6, s14
	s_addc_u32 s7, s7, s15
	s_cmp_lg_u64 s[12:13], 0
	s_cbranch_scc0 .LBB3_225
.LBB3_143:                              ; =>This Loop Header: Depth=1
                                        ;     Child Loop BB3_146 Depth 2
                                        ;     Child Loop BB3_153 Depth 2
	;; [unrolled: 1-line block ×11, first 2 shown]
	v_cmp_lt_u64_e64 s[4:5], s[12:13], 56
	s_and_b64 s[4:5], s[4:5], exec
	v_cmp_gt_u64_e64 s[4:5], s[12:13], 7
	s_cselect_b32 s15, s13, 0
	s_cselect_b32 s14, s12, 56
	s_and_b64 vcc, exec, s[4:5]
	s_cbranch_vccnz .LBB3_148
; %bb.144:                              ;   in Loop: Header=BB3_143 Depth=1
	s_mov_b64 s[4:5], 0
	s_cmp_eq_u64 s[12:13], 0
	v_pk_mov_b32 v[14:15], 0, 0
	s_cbranch_scc1 .LBB3_147
; %bb.145:                              ;   in Loop: Header=BB3_143 Depth=1
	s_lshl_b64 s[16:17], s[14:15], 3
	s_mov_b64 s[18:19], 0
	v_pk_mov_b32 v[14:15], 0, 0
	s_mov_b64 s[20:21], s[6:7]
.LBB3_146:                              ;   Parent Loop BB3_143 Depth=1
                                        ; =>  This Inner Loop Header: Depth=2
	global_load_ubyte v3, v33, s[20:21]
	s_waitcnt vmcnt(0)
	v_and_b32_e32 v32, 0xffff, v3
	v_lshlrev_b64 v[8:9], s18, v[32:33]
	s_add_u32 s18, s18, 8
	s_addc_u32 s19, s19, 0
	s_add_u32 s20, s20, 1
	s_addc_u32 s21, s21, 0
	v_or_b32_e32 v14, v8, v14
	s_cmp_lg_u32 s16, s18
	v_or_b32_e32 v15, v9, v15
	s_cbranch_scc1 .LBB3_146
.LBB3_147:                              ;   in Loop: Header=BB3_143 Depth=1
	s_mov_b32 s20, 0
	s_andn2_b64 vcc, exec, s[4:5]
	s_mov_b64 s[4:5], s[6:7]
	s_cbranch_vccz .LBB3_149
	s_branch .LBB3_150
.LBB3_148:                              ;   in Loop: Header=BB3_143 Depth=1
                                        ; implicit-def: $vgpr14_vgpr15
                                        ; implicit-def: $sgpr20
	s_mov_b64 s[4:5], s[6:7]
.LBB3_149:                              ;   in Loop: Header=BB3_143 Depth=1
	global_load_dwordx2 v[14:15], v33, s[6:7]
	s_add_i32 s20, s14, -8
	s_add_u32 s4, s6, 8
	s_addc_u32 s5, s7, 0
.LBB3_150:                              ;   in Loop: Header=BB3_143 Depth=1
	s_cmp_gt_u32 s20, 7
	s_cbranch_scc1 .LBB3_154
; %bb.151:                              ;   in Loop: Header=BB3_143 Depth=1
	s_cmp_eq_u32 s20, 0
	s_cbranch_scc1 .LBB3_155
; %bb.152:                              ;   in Loop: Header=BB3_143 Depth=1
	s_mov_b64 s[16:17], 0
	v_pk_mov_b32 v[16:17], 0, 0
	s_mov_b64 s[18:19], 0
.LBB3_153:                              ;   Parent Loop BB3_143 Depth=1
                                        ; =>  This Inner Loop Header: Depth=2
	s_add_u32 s22, s4, s18
	s_addc_u32 s23, s5, s19
	global_load_ubyte v3, v33, s[22:23]
	s_add_u32 s18, s18, 1
	s_addc_u32 s19, s19, 0
	s_waitcnt vmcnt(0)
	v_and_b32_e32 v32, 0xffff, v3
	v_lshlrev_b64 v[8:9], s16, v[32:33]
	s_add_u32 s16, s16, 8
	s_addc_u32 s17, s17, 0
	v_or_b32_e32 v16, v8, v16
	s_cmp_lg_u32 s20, s18
	v_or_b32_e32 v17, v9, v17
	s_cbranch_scc1 .LBB3_153
	s_branch .LBB3_156
.LBB3_154:                              ;   in Loop: Header=BB3_143 Depth=1
                                        ; implicit-def: $vgpr16_vgpr17
                                        ; implicit-def: $sgpr21
	s_branch .LBB3_157
.LBB3_155:                              ;   in Loop: Header=BB3_143 Depth=1
	v_pk_mov_b32 v[16:17], 0, 0
.LBB3_156:                              ;   in Loop: Header=BB3_143 Depth=1
	s_mov_b32 s21, 0
	s_cbranch_execnz .LBB3_158
.LBB3_157:                              ;   in Loop: Header=BB3_143 Depth=1
	global_load_dwordx2 v[16:17], v33, s[4:5]
	s_add_i32 s21, s20, -8
	s_add_u32 s4, s4, 8
	s_addc_u32 s5, s5, 0
.LBB3_158:                              ;   in Loop: Header=BB3_143 Depth=1
	s_cmp_gt_u32 s21, 7
	s_cbranch_scc1 .LBB3_162
; %bb.159:                              ;   in Loop: Header=BB3_143 Depth=1
	s_cmp_eq_u32 s21, 0
	s_cbranch_scc1 .LBB3_163
; %bb.160:                              ;   in Loop: Header=BB3_143 Depth=1
	s_mov_b64 s[16:17], 0
	v_pk_mov_b32 v[18:19], 0, 0
	s_mov_b64 s[18:19], 0
.LBB3_161:                              ;   Parent Loop BB3_143 Depth=1
                                        ; =>  This Inner Loop Header: Depth=2
	s_add_u32 s22, s4, s18
	s_addc_u32 s23, s5, s19
	global_load_ubyte v3, v33, s[22:23]
	s_add_u32 s18, s18, 1
	s_addc_u32 s19, s19, 0
	s_waitcnt vmcnt(0)
	v_and_b32_e32 v32, 0xffff, v3
	v_lshlrev_b64 v[8:9], s16, v[32:33]
	s_add_u32 s16, s16, 8
	s_addc_u32 s17, s17, 0
	v_or_b32_e32 v18, v8, v18
	s_cmp_lg_u32 s21, s18
	v_or_b32_e32 v19, v9, v19
	s_cbranch_scc1 .LBB3_161
	s_branch .LBB3_164
.LBB3_162:                              ;   in Loop: Header=BB3_143 Depth=1
                                        ; implicit-def: $sgpr20
	s_branch .LBB3_165
.LBB3_163:                              ;   in Loop: Header=BB3_143 Depth=1
	v_pk_mov_b32 v[18:19], 0, 0
.LBB3_164:                              ;   in Loop: Header=BB3_143 Depth=1
	s_mov_b32 s20, 0
	s_cbranch_execnz .LBB3_166
.LBB3_165:                              ;   in Loop: Header=BB3_143 Depth=1
	global_load_dwordx2 v[18:19], v33, s[4:5]
	s_add_i32 s20, s21, -8
	s_add_u32 s4, s4, 8
	s_addc_u32 s5, s5, 0
.LBB3_166:                              ;   in Loop: Header=BB3_143 Depth=1
	s_cmp_gt_u32 s20, 7
	s_cbranch_scc1 .LBB3_170
; %bb.167:                              ;   in Loop: Header=BB3_143 Depth=1
	s_cmp_eq_u32 s20, 0
	s_cbranch_scc1 .LBB3_171
; %bb.168:                              ;   in Loop: Header=BB3_143 Depth=1
	s_mov_b64 s[16:17], 0
	v_pk_mov_b32 v[20:21], 0, 0
	s_mov_b64 s[18:19], 0
.LBB3_169:                              ;   Parent Loop BB3_143 Depth=1
                                        ; =>  This Inner Loop Header: Depth=2
	s_add_u32 s22, s4, s18
	s_addc_u32 s23, s5, s19
	global_load_ubyte v3, v33, s[22:23]
	s_add_u32 s18, s18, 1
	s_addc_u32 s19, s19, 0
	s_waitcnt vmcnt(0)
	v_and_b32_e32 v32, 0xffff, v3
	v_lshlrev_b64 v[8:9], s16, v[32:33]
	s_add_u32 s16, s16, 8
	s_addc_u32 s17, s17, 0
	v_or_b32_e32 v20, v8, v20
	s_cmp_lg_u32 s20, s18
	v_or_b32_e32 v21, v9, v21
	s_cbranch_scc1 .LBB3_169
	s_branch .LBB3_172
.LBB3_170:                              ;   in Loop: Header=BB3_143 Depth=1
                                        ; implicit-def: $vgpr20_vgpr21
                                        ; implicit-def: $sgpr21
	s_branch .LBB3_173
.LBB3_171:                              ;   in Loop: Header=BB3_143 Depth=1
	v_pk_mov_b32 v[20:21], 0, 0
.LBB3_172:                              ;   in Loop: Header=BB3_143 Depth=1
	s_mov_b32 s21, 0
	s_cbranch_execnz .LBB3_174
.LBB3_173:                              ;   in Loop: Header=BB3_143 Depth=1
	global_load_dwordx2 v[20:21], v33, s[4:5]
	s_add_i32 s21, s20, -8
	s_add_u32 s4, s4, 8
	s_addc_u32 s5, s5, 0
.LBB3_174:                              ;   in Loop: Header=BB3_143 Depth=1
	s_cmp_gt_u32 s21, 7
	s_cbranch_scc1 .LBB3_178
; %bb.175:                              ;   in Loop: Header=BB3_143 Depth=1
	s_cmp_eq_u32 s21, 0
	s_cbranch_scc1 .LBB3_179
; %bb.176:                              ;   in Loop: Header=BB3_143 Depth=1
	s_mov_b64 s[16:17], 0
	v_pk_mov_b32 v[22:23], 0, 0
	s_mov_b64 s[18:19], 0
.LBB3_177:                              ;   Parent Loop BB3_143 Depth=1
                                        ; =>  This Inner Loop Header: Depth=2
	s_add_u32 s22, s4, s18
	s_addc_u32 s23, s5, s19
	global_load_ubyte v3, v33, s[22:23]
	s_add_u32 s18, s18, 1
	s_addc_u32 s19, s19, 0
	s_waitcnt vmcnt(0)
	v_and_b32_e32 v32, 0xffff, v3
	v_lshlrev_b64 v[8:9], s16, v[32:33]
	s_add_u32 s16, s16, 8
	s_addc_u32 s17, s17, 0
	v_or_b32_e32 v22, v8, v22
	s_cmp_lg_u32 s21, s18
	v_or_b32_e32 v23, v9, v23
	s_cbranch_scc1 .LBB3_177
	s_branch .LBB3_180
.LBB3_178:                              ;   in Loop: Header=BB3_143 Depth=1
                                        ; implicit-def: $sgpr20
	s_branch .LBB3_181
.LBB3_179:                              ;   in Loop: Header=BB3_143 Depth=1
	v_pk_mov_b32 v[22:23], 0, 0
.LBB3_180:                              ;   in Loop: Header=BB3_143 Depth=1
	s_mov_b32 s20, 0
	s_cbranch_execnz .LBB3_182
.LBB3_181:                              ;   in Loop: Header=BB3_143 Depth=1
	global_load_dwordx2 v[22:23], v33, s[4:5]
	s_add_i32 s20, s21, -8
	s_add_u32 s4, s4, 8
	s_addc_u32 s5, s5, 0
.LBB3_182:                              ;   in Loop: Header=BB3_143 Depth=1
	s_cmp_gt_u32 s20, 7
	s_cbranch_scc1 .LBB3_186
; %bb.183:                              ;   in Loop: Header=BB3_143 Depth=1
	s_cmp_eq_u32 s20, 0
	s_cbranch_scc1 .LBB3_187
; %bb.184:                              ;   in Loop: Header=BB3_143 Depth=1
	s_mov_b64 s[16:17], 0
	v_pk_mov_b32 v[24:25], 0, 0
	s_mov_b64 s[18:19], 0
.LBB3_185:                              ;   Parent Loop BB3_143 Depth=1
                                        ; =>  This Inner Loop Header: Depth=2
	s_add_u32 s22, s4, s18
	s_addc_u32 s23, s5, s19
	global_load_ubyte v3, v33, s[22:23]
	s_add_u32 s18, s18, 1
	s_addc_u32 s19, s19, 0
	s_waitcnt vmcnt(0)
	v_and_b32_e32 v32, 0xffff, v3
	v_lshlrev_b64 v[8:9], s16, v[32:33]
	s_add_u32 s16, s16, 8
	s_addc_u32 s17, s17, 0
	v_or_b32_e32 v24, v8, v24
	s_cmp_lg_u32 s20, s18
	v_or_b32_e32 v25, v9, v25
	s_cbranch_scc1 .LBB3_185
	s_branch .LBB3_188
.LBB3_186:                              ;   in Loop: Header=BB3_143 Depth=1
                                        ; implicit-def: $vgpr24_vgpr25
                                        ; implicit-def: $sgpr21
	s_branch .LBB3_189
.LBB3_187:                              ;   in Loop: Header=BB3_143 Depth=1
	v_pk_mov_b32 v[24:25], 0, 0
.LBB3_188:                              ;   in Loop: Header=BB3_143 Depth=1
	s_mov_b32 s21, 0
	s_cbranch_execnz .LBB3_190
.LBB3_189:                              ;   in Loop: Header=BB3_143 Depth=1
	global_load_dwordx2 v[24:25], v33, s[4:5]
	s_add_i32 s21, s20, -8
	s_add_u32 s4, s4, 8
	s_addc_u32 s5, s5, 0
.LBB3_190:                              ;   in Loop: Header=BB3_143 Depth=1
	s_cmp_gt_u32 s21, 7
	s_cbranch_scc1 .LBB3_194
; %bb.191:                              ;   in Loop: Header=BB3_143 Depth=1
	s_cmp_eq_u32 s21, 0
	s_cbranch_scc1 .LBB3_195
; %bb.192:                              ;   in Loop: Header=BB3_143 Depth=1
	s_mov_b64 s[16:17], 0
	v_pk_mov_b32 v[26:27], 0, 0
	s_mov_b64 s[18:19], s[4:5]
.LBB3_193:                              ;   Parent Loop BB3_143 Depth=1
                                        ; =>  This Inner Loop Header: Depth=2
	global_load_ubyte v3, v33, s[18:19]
	s_add_i32 s21, s21, -1
	s_waitcnt vmcnt(0)
	v_and_b32_e32 v32, 0xffff, v3
	v_lshlrev_b64 v[8:9], s16, v[32:33]
	s_add_u32 s16, s16, 8
	s_addc_u32 s17, s17, 0
	s_add_u32 s18, s18, 1
	s_addc_u32 s19, s19, 0
	v_or_b32_e32 v26, v8, v26
	s_cmp_lg_u32 s21, 0
	v_or_b32_e32 v27, v9, v27
	s_cbranch_scc1 .LBB3_193
	s_branch .LBB3_196
.LBB3_194:                              ;   in Loop: Header=BB3_143 Depth=1
	s_branch .LBB3_197
.LBB3_195:                              ;   in Loop: Header=BB3_143 Depth=1
	v_pk_mov_b32 v[26:27], 0, 0
.LBB3_196:                              ;   in Loop: Header=BB3_143 Depth=1
	s_cbranch_execnz .LBB3_198
.LBB3_197:                              ;   in Loop: Header=BB3_143 Depth=1
	global_load_dwordx2 v[26:27], v33, s[4:5]
.LBB3_198:                              ;   in Loop: Header=BB3_143 Depth=1
	v_readfirstlane_b32 s4, v37
	v_cmp_eq_u32_e64 s[4:5], s4, v37
	s_waitcnt vmcnt(0)
	v_pk_mov_b32 v[8:9], 0, 0
	s_and_saveexec_b64 s[16:17], s[4:5]
	s_cbranch_execz .LBB3_204
; %bb.199:                              ;   in Loop: Header=BB3_143 Depth=1
	global_load_dwordx2 v[30:31], v33, s[10:11] offset:24 glc
	s_waitcnt vmcnt(0)
	buffer_invl2
	buffer_wbinvl1_vol
	global_load_dwordx2 v[8:9], v33, s[10:11] offset:40
	global_load_dwordx2 v[12:13], v33, s[10:11]
	s_waitcnt vmcnt(1)
	v_and_b32_e32 v3, v8, v30
	v_and_b32_e32 v8, v9, v31
	v_mul_lo_u32 v8, v8, 24
	v_mul_hi_u32 v9, v3, 24
	v_mul_lo_u32 v3, v3, 24
	v_add_u32_e32 v9, v9, v8
	s_waitcnt vmcnt(0)
	v_add_co_u32_e32 v8, vcc, v12, v3
	v_addc_co_u32_e32 v9, vcc, v13, v9, vcc
	global_load_dwordx2 v[28:29], v[8:9], off glc
	s_waitcnt vmcnt(0)
	global_atomic_cmpswap_x2 v[8:9], v33, v[28:31], s[10:11] offset:24 glc
	s_waitcnt vmcnt(0)
	buffer_invl2
	buffer_wbinvl1_vol
	v_cmp_ne_u64_e32 vcc, v[8:9], v[30:31]
	s_and_saveexec_b64 s[18:19], vcc
	s_cbranch_execz .LBB3_203
; %bb.200:                              ;   in Loop: Header=BB3_143 Depth=1
	s_mov_b64 s[20:21], 0
.LBB3_201:                              ;   Parent Loop BB3_143 Depth=1
                                        ; =>  This Inner Loop Header: Depth=2
	s_sleep 1
	global_load_dwordx2 v[12:13], v33, s[10:11] offset:40
	global_load_dwordx2 v[28:29], v33, s[10:11]
	v_pk_mov_b32 v[30:31], v[8:9], v[8:9] op_sel:[0,1]
	s_waitcnt vmcnt(1)
	v_and_b32_e32 v8, v12, v30
	s_waitcnt vmcnt(0)
	v_mad_u64_u32 v[8:9], s[22:23], v8, 24, v[28:29]
	v_and_b32_e32 v3, v13, v31
	v_mov_b32_e32 v12, v9
	v_mad_u64_u32 v[12:13], s[22:23], v3, 24, v[12:13]
	v_mov_b32_e32 v9, v12
	global_load_dwordx2 v[28:29], v[8:9], off glc
	s_waitcnt vmcnt(0)
	global_atomic_cmpswap_x2 v[8:9], v33, v[28:31], s[10:11] offset:24 glc
	s_waitcnt vmcnt(0)
	buffer_invl2
	buffer_wbinvl1_vol
	v_cmp_eq_u64_e32 vcc, v[8:9], v[30:31]
	s_or_b64 s[20:21], vcc, s[20:21]
	s_andn2_b64 exec, exec, s[20:21]
	s_cbranch_execnz .LBB3_201
; %bb.202:                              ;   in Loop: Header=BB3_143 Depth=1
	s_or_b64 exec, exec, s[20:21]
.LBB3_203:                              ;   in Loop: Header=BB3_143 Depth=1
	s_or_b64 exec, exec, s[18:19]
.LBB3_204:                              ;   in Loop: Header=BB3_143 Depth=1
	s_or_b64 exec, exec, s[16:17]
	global_load_dwordx2 v[12:13], v33, s[10:11] offset:40
	global_load_dwordx4 v[28:31], v33, s[10:11]
	v_readfirstlane_b32 s16, v8
	v_readfirstlane_b32 s17, v9
	s_mov_b64 s[18:19], exec
	s_waitcnt vmcnt(1)
	v_readfirstlane_b32 s20, v12
	v_readfirstlane_b32 s21, v13
	s_and_b64 s[20:21], s[16:17], s[20:21]
	s_mul_i32 s22, s21, 24
	s_mul_hi_u32 s23, s20, 24
	s_mul_i32 s24, s20, 24
	s_add_i32 s22, s23, s22
	v_mov_b32_e32 v3, s22
	s_waitcnt vmcnt(0)
	v_add_co_u32_e32 v34, vcc, s24, v28
	v_addc_co_u32_e32 v35, vcc, v29, v3, vcc
	s_and_saveexec_b64 s[22:23], s[4:5]
	s_cbranch_execz .LBB3_206
; %bb.205:                              ;   in Loop: Header=BB3_143 Depth=1
	v_pk_mov_b32 v[8:9], s[18:19], s[18:19] op_sel:[0,1]
	global_store_dwordx4 v[34:35], v[8:11], off offset:8
.LBB3_206:                              ;   in Loop: Header=BB3_143 Depth=1
	s_or_b64 exec, exec, s[22:23]
	s_lshl_b64 s[18:19], s[20:21], 12
	v_mov_b32_e32 v3, s19
	v_add_co_u32_e32 v30, vcc, s18, v30
	v_addc_co_u32_e32 v3, vcc, v31, v3, vcc
	v_or_b32_e32 v9, v6, v2
	v_cmp_gt_u64_e64 vcc, s[12:13], 56
	s_lshl_b32 s18, s14, 2
	v_cndmask_b32_e32 v6, v9, v6, vcc
	s_add_i32 s18, s18, 28
	v_or_b32_e32 v8, 0, v7
	s_and_b32 s18, s18, 0x1e0
	v_and_b32_e32 v6, 0xffffff1f, v6
	v_cndmask_b32_e32 v13, v8, v7, vcc
	v_or_b32_e32 v12, s18, v6
	v_readfirstlane_b32 s18, v30
	v_readfirstlane_b32 s19, v3
	s_nop 4
	global_store_dwordx4 v36, v[12:15], s[18:19]
	global_store_dwordx4 v36, v[16:19], s[18:19] offset:16
	global_store_dwordx4 v36, v[20:23], s[18:19] offset:32
	;; [unrolled: 1-line block ×3, first 2 shown]
	s_and_saveexec_b64 s[18:19], s[4:5]
	s_cbranch_execz .LBB3_214
; %bb.207:                              ;   in Loop: Header=BB3_143 Depth=1
	global_load_dwordx2 v[16:17], v33, s[10:11] offset:32 glc
	global_load_dwordx2 v[6:7], v33, s[10:11] offset:40
	v_mov_b32_e32 v14, s16
	v_mov_b32_e32 v15, s17
	s_waitcnt vmcnt(0)
	v_readfirstlane_b32 s20, v6
	v_readfirstlane_b32 s21, v7
	s_and_b64 s[20:21], s[20:21], s[16:17]
	s_mul_i32 s21, s21, 24
	s_mul_hi_u32 s22, s20, 24
	s_mul_i32 s20, s20, 24
	s_add_i32 s21, s22, s21
	v_mov_b32_e32 v6, s21
	v_add_co_u32_e32 v12, vcc, s20, v28
	v_addc_co_u32_e32 v13, vcc, v29, v6, vcc
	global_store_dwordx2 v[12:13], v[16:17], off
	buffer_wbl2
	s_waitcnt vmcnt(0)
	global_atomic_cmpswap_x2 v[8:9], v33, v[14:17], s[10:11] offset:32 glc
	s_waitcnt vmcnt(0)
	v_cmp_ne_u64_e32 vcc, v[8:9], v[16:17]
	s_and_saveexec_b64 s[20:21], vcc
	s_cbranch_execz .LBB3_210
; %bb.208:                              ;   in Loop: Header=BB3_143 Depth=1
	s_mov_b64 s[22:23], 0
.LBB3_209:                              ;   Parent Loop BB3_143 Depth=1
                                        ; =>  This Inner Loop Header: Depth=2
	s_sleep 1
	global_store_dwordx2 v[12:13], v[8:9], off
	v_mov_b32_e32 v6, s16
	v_mov_b32_e32 v7, s17
	buffer_wbl2
	s_waitcnt vmcnt(0)
	global_atomic_cmpswap_x2 v[6:7], v33, v[6:9], s[10:11] offset:32 glc
	s_waitcnt vmcnt(0)
	v_cmp_eq_u64_e32 vcc, v[6:7], v[8:9]
	s_or_b64 s[22:23], vcc, s[22:23]
	v_pk_mov_b32 v[8:9], v[6:7], v[6:7] op_sel:[0,1]
	s_andn2_b64 exec, exec, s[22:23]
	s_cbranch_execnz .LBB3_209
.LBB3_210:                              ;   in Loop: Header=BB3_143 Depth=1
	s_or_b64 exec, exec, s[20:21]
	global_load_dwordx2 v[6:7], v33, s[10:11] offset:16
	s_mov_b64 s[22:23], exec
	v_mbcnt_lo_u32_b32 v8, s22, 0
	v_mbcnt_hi_u32_b32 v8, s23, v8
	v_cmp_eq_u32_e32 vcc, 0, v8
	s_and_saveexec_b64 s[20:21], vcc
	s_cbranch_execz .LBB3_212
; %bb.211:                              ;   in Loop: Header=BB3_143 Depth=1
	s_bcnt1_i32_b64 s22, s[22:23]
	v_mov_b32_e32 v32, s22
	buffer_wbl2
	s_waitcnt vmcnt(0)
	global_atomic_add_x2 v[6:7], v[32:33], off offset:8
.LBB3_212:                              ;   in Loop: Header=BB3_143 Depth=1
	s_or_b64 exec, exec, s[20:21]
	s_waitcnt vmcnt(0)
	global_load_dwordx2 v[8:9], v[6:7], off offset:16
	s_waitcnt vmcnt(0)
	v_cmp_eq_u64_e32 vcc, 0, v[8:9]
	s_cbranch_vccnz .LBB3_214
; %bb.213:                              ;   in Loop: Header=BB3_143 Depth=1
	global_load_dword v32, v[6:7], off offset:24
	s_waitcnt vmcnt(0)
	v_and_b32_e32 v6, 0xffffff, v32
	v_readfirstlane_b32 m0, v6
	buffer_wbl2
	global_store_dwordx2 v[8:9], v[32:33], off
	s_sendmsg sendmsg(MSG_INTERRUPT)
.LBB3_214:                              ;   in Loop: Header=BB3_143 Depth=1
	s_or_b64 exec, exec, s[18:19]
	v_add_co_u32_e32 v6, vcc, v30, v36
	v_addc_co_u32_e32 v7, vcc, 0, v3, vcc
	s_branch .LBB3_218
.LBB3_215:                              ;   in Loop: Header=BB3_218 Depth=2
	s_or_b64 exec, exec, s[18:19]
	v_readfirstlane_b32 s18, v3
	s_cmp_eq_u32 s18, 0
	s_cbranch_scc1 .LBB3_217
; %bb.216:                              ;   in Loop: Header=BB3_218 Depth=2
	s_sleep 1
	s_cbranch_execnz .LBB3_218
	s_branch .LBB3_220
.LBB3_217:                              ;   in Loop: Header=BB3_143 Depth=1
	s_branch .LBB3_220
.LBB3_218:                              ;   Parent Loop BB3_143 Depth=1
                                        ; =>  This Inner Loop Header: Depth=2
	v_mov_b32_e32 v3, 1
	s_and_saveexec_b64 s[18:19], s[4:5]
	s_cbranch_execz .LBB3_215
; %bb.219:                              ;   in Loop: Header=BB3_218 Depth=2
	global_load_dword v3, v[34:35], off offset:20 glc
	s_waitcnt vmcnt(0)
	buffer_invl2
	buffer_wbinvl1_vol
	v_and_b32_e32 v3, 1, v3
	s_branch .LBB3_215
.LBB3_220:                              ;   in Loop: Header=BB3_143 Depth=1
	global_load_dwordx4 v[6:9], v[6:7], off
	s_and_saveexec_b64 s[18:19], s[4:5]
	s_cbranch_execz .LBB3_142
; %bb.221:                              ;   in Loop: Header=BB3_143 Depth=1
	global_load_dwordx2 v[8:9], v33, s[10:11] offset:40
	global_load_dwordx2 v[16:17], v33, s[10:11] offset:24 glc
	global_load_dwordx2 v[18:19], v33, s[10:11]
	v_mov_b32_e32 v3, s17
	s_waitcnt vmcnt(2)
	v_add_co_u32_e32 v15, vcc, 1, v8
	v_addc_co_u32_e32 v20, vcc, 0, v9, vcc
	v_add_co_u32_e32 v12, vcc, s16, v15
	v_addc_co_u32_e32 v13, vcc, v20, v3, vcc
	v_cmp_eq_u64_e32 vcc, 0, v[12:13]
	v_cndmask_b32_e32 v13, v13, v20, vcc
	v_cndmask_b32_e32 v12, v12, v15, vcc
	v_and_b32_e32 v3, v13, v9
	v_and_b32_e32 v8, v12, v8
	v_mul_lo_u32 v3, v3, 24
	v_mul_hi_u32 v9, v8, 24
	v_mul_lo_u32 v8, v8, 24
	v_add_u32_e32 v3, v9, v3
	s_waitcnt vmcnt(0)
	v_add_co_u32_e32 v8, vcc, v18, v8
	v_addc_co_u32_e32 v9, vcc, v19, v3, vcc
	v_mov_b32_e32 v14, v16
	global_store_dwordx2 v[8:9], v[16:17], off
	v_mov_b32_e32 v15, v17
	buffer_wbl2
	s_waitcnt vmcnt(0)
	global_atomic_cmpswap_x2 v[14:15], v33, v[12:15], s[10:11] offset:24 glc
	s_waitcnt vmcnt(0)
	v_cmp_ne_u64_e32 vcc, v[14:15], v[16:17]
	s_and_b64 exec, exec, vcc
	s_cbranch_execz .LBB3_142
; %bb.222:                              ;   in Loop: Header=BB3_143 Depth=1
	s_mov_b64 s[4:5], 0
.LBB3_223:                              ;   Parent Loop BB3_143 Depth=1
                                        ; =>  This Inner Loop Header: Depth=2
	s_sleep 1
	global_store_dwordx2 v[8:9], v[14:15], off
	buffer_wbl2
	s_waitcnt vmcnt(0)
	global_atomic_cmpswap_x2 v[16:17], v33, v[12:15], s[10:11] offset:24 glc
	s_waitcnt vmcnt(0)
	v_cmp_eq_u64_e32 vcc, v[16:17], v[14:15]
	s_or_b64 s[4:5], vcc, s[4:5]
	v_pk_mov_b32 v[14:15], v[16:17], v[16:17] op_sel:[0,1]
	s_andn2_b64 exec, exec, s[4:5]
	s_cbranch_execnz .LBB3_223
	s_branch .LBB3_142
.LBB3_224:
                                        ; implicit-def: $vgpr6_vgpr7
	s_cbranch_execnz .LBB3_226
	s_branch .LBB3_252
.LBB3_225:
	s_branch .LBB3_252
.LBB3_226:
	v_readfirstlane_b32 s4, v37
	v_cmp_eq_u32_e64 s[4:5], s4, v37
	v_pk_mov_b32 v[10:11], 0, 0
	s_and_saveexec_b64 s[6:7], s[4:5]
	s_cbranch_execz .LBB3_232
; %bb.227:
	s_waitcnt vmcnt(0)
	v_mov_b32_e32 v2, 0
	global_load_dwordx2 v[8:9], v2, s[10:11] offset:24 glc
	s_waitcnt vmcnt(0)
	buffer_invl2
	buffer_wbinvl1_vol
	global_load_dwordx2 v[6:7], v2, s[10:11] offset:40
	global_load_dwordx2 v[10:11], v2, s[10:11]
	s_waitcnt vmcnt(1)
	v_and_b32_e32 v3, v6, v8
	v_and_b32_e32 v6, v7, v9
	v_mul_lo_u32 v6, v6, 24
	v_mul_hi_u32 v7, v3, 24
	v_mul_lo_u32 v3, v3, 24
	v_add_u32_e32 v7, v7, v6
	s_waitcnt vmcnt(0)
	v_add_co_u32_e32 v6, vcc, v10, v3
	v_addc_co_u32_e32 v7, vcc, v11, v7, vcc
	global_load_dwordx2 v[6:7], v[6:7], off glc
	s_waitcnt vmcnt(0)
	global_atomic_cmpswap_x2 v[10:11], v2, v[6:9], s[10:11] offset:24 glc
	s_waitcnt vmcnt(0)
	buffer_invl2
	buffer_wbinvl1_vol
	v_cmp_ne_u64_e32 vcc, v[10:11], v[8:9]
	s_and_saveexec_b64 s[12:13], vcc
	s_cbranch_execz .LBB3_231
; %bb.228:
	s_mov_b64 s[14:15], 0
.LBB3_229:                              ; =>This Inner Loop Header: Depth=1
	s_sleep 1
	global_load_dwordx2 v[6:7], v2, s[10:11] offset:40
	global_load_dwordx2 v[12:13], v2, s[10:11]
	v_pk_mov_b32 v[8:9], v[10:11], v[10:11] op_sel:[0,1]
	s_waitcnt vmcnt(1)
	v_and_b32_e32 v6, v6, v8
	v_and_b32_e32 v3, v7, v9
	s_waitcnt vmcnt(0)
	v_mad_u64_u32 v[6:7], s[16:17], v6, 24, v[12:13]
	v_mov_b32_e32 v10, v7
	v_mad_u64_u32 v[10:11], s[16:17], v3, 24, v[10:11]
	v_mov_b32_e32 v7, v10
	global_load_dwordx2 v[6:7], v[6:7], off glc
	s_waitcnt vmcnt(0)
	global_atomic_cmpswap_x2 v[10:11], v2, v[6:9], s[10:11] offset:24 glc
	s_waitcnt vmcnt(0)
	buffer_invl2
	buffer_wbinvl1_vol
	v_cmp_eq_u64_e32 vcc, v[10:11], v[8:9]
	s_or_b64 s[14:15], vcc, s[14:15]
	s_andn2_b64 exec, exec, s[14:15]
	s_cbranch_execnz .LBB3_229
; %bb.230:
	s_or_b64 exec, exec, s[14:15]
.LBB3_231:
	s_or_b64 exec, exec, s[12:13]
.LBB3_232:
	s_or_b64 exec, exec, s[6:7]
	s_waitcnt vmcnt(0)
	v_mov_b32_e32 v2, 0
	global_load_dwordx2 v[12:13], v2, s[10:11] offset:40
	global_load_dwordx4 v[6:9], v2, s[10:11]
	v_readfirstlane_b32 s6, v10
	v_readfirstlane_b32 s7, v11
	s_mov_b64 s[12:13], exec
	s_waitcnt vmcnt(1)
	v_readfirstlane_b32 s14, v12
	v_readfirstlane_b32 s15, v13
	s_and_b64 s[14:15], s[6:7], s[14:15]
	s_mul_i32 s16, s15, 24
	s_mul_hi_u32 s17, s14, 24
	s_mul_i32 s18, s14, 24
	s_add_i32 s16, s17, s16
	v_mov_b32_e32 v3, s16
	s_waitcnt vmcnt(0)
	v_add_co_u32_e32 v10, vcc, s18, v6
	v_addc_co_u32_e32 v11, vcc, v7, v3, vcc
	s_and_saveexec_b64 s[16:17], s[4:5]
	s_cbranch_execz .LBB3_234
; %bb.233:
	v_pk_mov_b32 v[12:13], s[12:13], s[12:13] op_sel:[0,1]
	v_mov_b32_e32 v14, 2
	v_mov_b32_e32 v15, 1
	global_store_dwordx4 v[10:11], v[12:15], off offset:8
.LBB3_234:
	s_or_b64 exec, exec, s[16:17]
	s_lshl_b64 s[12:13], s[14:15], 12
	v_mov_b32_e32 v3, s13
	v_add_co_u32_e32 v12, vcc, s12, v8
	s_movk_i32 s12, 0xff1f
	v_addc_co_u32_e32 v13, vcc, v9, v3, vcc
	v_and_or_b32 v0, v0, s12, 32
	s_mov_b32 s12, 0
	v_mov_b32_e32 v3, v2
	v_readfirstlane_b32 s16, v12
	v_readfirstlane_b32 s17, v13
	s_mov_b32 s13, s12
	v_add_co_u32_e32 v8, vcc, v12, v36
	s_mov_b32 s14, s12
	s_mov_b32 s15, s12
	s_nop 0
	global_store_dwordx4 v36, v[0:3], s[16:17]
	v_addc_co_u32_e32 v9, vcc, 0, v13, vcc
	v_pk_mov_b32 v[0:1], s[12:13], s[12:13] op_sel:[0,1]
	v_pk_mov_b32 v[2:3], s[14:15], s[14:15] op_sel:[0,1]
	global_store_dwordx4 v36, v[0:3], s[16:17] offset:16
	global_store_dwordx4 v36, v[0:3], s[16:17] offset:32
	;; [unrolled: 1-line block ×3, first 2 shown]
	s_and_saveexec_b64 s[12:13], s[4:5]
	s_cbranch_execz .LBB3_242
; %bb.235:
	v_mov_b32_e32 v12, 0
	global_load_dwordx2 v[16:17], v12, s[10:11] offset:32 glc
	global_load_dwordx2 v[0:1], v12, s[10:11] offset:40
	v_mov_b32_e32 v14, s6
	v_mov_b32_e32 v15, s7
	s_waitcnt vmcnt(0)
	v_readfirstlane_b32 s14, v0
	v_readfirstlane_b32 s15, v1
	s_and_b64 s[14:15], s[14:15], s[6:7]
	s_mul_i32 s15, s15, 24
	s_mul_hi_u32 s16, s14, 24
	s_mul_i32 s14, s14, 24
	s_add_i32 s15, s16, s15
	v_mov_b32_e32 v0, s15
	v_add_co_u32_e32 v6, vcc, s14, v6
	v_addc_co_u32_e32 v7, vcc, v7, v0, vcc
	global_store_dwordx2 v[6:7], v[16:17], off
	buffer_wbl2
	s_waitcnt vmcnt(0)
	global_atomic_cmpswap_x2 v[2:3], v12, v[14:17], s[10:11] offset:32 glc
	s_waitcnt vmcnt(0)
	v_cmp_ne_u64_e32 vcc, v[2:3], v[16:17]
	s_and_saveexec_b64 s[14:15], vcc
	s_cbranch_execz .LBB3_238
; %bb.236:
	s_mov_b64 s[16:17], 0
.LBB3_237:                              ; =>This Inner Loop Header: Depth=1
	s_sleep 1
	global_store_dwordx2 v[6:7], v[2:3], off
	v_mov_b32_e32 v0, s6
	v_mov_b32_e32 v1, s7
	buffer_wbl2
	s_waitcnt vmcnt(0)
	global_atomic_cmpswap_x2 v[0:1], v12, v[0:3], s[10:11] offset:32 glc
	s_waitcnt vmcnt(0)
	v_cmp_eq_u64_e32 vcc, v[0:1], v[2:3]
	s_or_b64 s[16:17], vcc, s[16:17]
	v_pk_mov_b32 v[2:3], v[0:1], v[0:1] op_sel:[0,1]
	s_andn2_b64 exec, exec, s[16:17]
	s_cbranch_execnz .LBB3_237
.LBB3_238:
	s_or_b64 exec, exec, s[14:15]
	v_mov_b32_e32 v3, 0
	global_load_dwordx2 v[0:1], v3, s[10:11] offset:16
	s_mov_b64 s[14:15], exec
	v_mbcnt_lo_u32_b32 v2, s14, 0
	v_mbcnt_hi_u32_b32 v2, s15, v2
	v_cmp_eq_u32_e32 vcc, 0, v2
	s_and_saveexec_b64 s[16:17], vcc
	s_cbranch_execz .LBB3_240
; %bb.239:
	s_bcnt1_i32_b64 s14, s[14:15]
	v_mov_b32_e32 v2, s14
	buffer_wbl2
	s_waitcnt vmcnt(0)
	global_atomic_add_x2 v[0:1], v[2:3], off offset:8
.LBB3_240:
	s_or_b64 exec, exec, s[16:17]
	s_waitcnt vmcnt(0)
	global_load_dwordx2 v[2:3], v[0:1], off offset:16
	s_waitcnt vmcnt(0)
	v_cmp_eq_u64_e32 vcc, 0, v[2:3]
	s_cbranch_vccnz .LBB3_242
; %bb.241:
	global_load_dword v0, v[0:1], off offset:24
	v_mov_b32_e32 v1, 0
	buffer_wbl2
	s_waitcnt vmcnt(0)
	global_store_dwordx2 v[2:3], v[0:1], off
	v_and_b32_e32 v0, 0xffffff, v0
	v_readfirstlane_b32 m0, v0
	s_sendmsg sendmsg(MSG_INTERRUPT)
.LBB3_242:
	s_or_b64 exec, exec, s[12:13]
	s_branch .LBB3_246
.LBB3_243:                              ;   in Loop: Header=BB3_246 Depth=1
	s_or_b64 exec, exec, s[12:13]
	v_readfirstlane_b32 s12, v0
	s_cmp_eq_u32 s12, 0
	s_cbranch_scc1 .LBB3_245
; %bb.244:                              ;   in Loop: Header=BB3_246 Depth=1
	s_sleep 1
	s_cbranch_execnz .LBB3_246
	s_branch .LBB3_248
.LBB3_245:
	s_branch .LBB3_248
.LBB3_246:                              ; =>This Inner Loop Header: Depth=1
	v_mov_b32_e32 v0, 1
	s_and_saveexec_b64 s[12:13], s[4:5]
	s_cbranch_execz .LBB3_243
; %bb.247:                              ;   in Loop: Header=BB3_246 Depth=1
	global_load_dword v0, v[10:11], off offset:20 glc
	s_waitcnt vmcnt(0)
	buffer_invl2
	buffer_wbinvl1_vol
	v_and_b32_e32 v0, 1, v0
	s_branch .LBB3_243
.LBB3_248:
	global_load_dwordx2 v[6:7], v[8:9], off
	s_and_saveexec_b64 s[12:13], s[4:5]
	s_cbranch_execz .LBB3_251
; %bb.249:
	v_mov_b32_e32 v10, 0
	global_load_dwordx2 v[8:9], v10, s[10:11] offset:40
	global_load_dwordx2 v[12:13], v10, s[10:11] offset:24 glc
	global_load_dwordx2 v[14:15], v10, s[10:11]
	v_mov_b32_e32 v1, s7
	s_mov_b64 s[4:5], 0
	s_waitcnt vmcnt(2)
	v_add_co_u32_e32 v3, vcc, 1, v8
	v_addc_co_u32_e32 v11, vcc, 0, v9, vcc
	v_add_co_u32_e32 v0, vcc, s6, v3
	v_addc_co_u32_e32 v1, vcc, v11, v1, vcc
	v_cmp_eq_u64_e32 vcc, 0, v[0:1]
	v_cndmask_b32_e32 v1, v1, v11, vcc
	v_cndmask_b32_e32 v0, v0, v3, vcc
	v_and_b32_e32 v3, v1, v9
	v_and_b32_e32 v8, v0, v8
	v_mul_lo_u32 v3, v3, 24
	v_mul_hi_u32 v9, v8, 24
	v_mul_lo_u32 v8, v8, 24
	v_add_u32_e32 v3, v9, v3
	s_waitcnt vmcnt(0)
	v_add_co_u32_e32 v8, vcc, v14, v8
	v_addc_co_u32_e32 v9, vcc, v15, v3, vcc
	v_mov_b32_e32 v2, v12
	global_store_dwordx2 v[8:9], v[12:13], off
	v_mov_b32_e32 v3, v13
	buffer_wbl2
	s_waitcnt vmcnt(0)
	global_atomic_cmpswap_x2 v[2:3], v10, v[0:3], s[10:11] offset:24 glc
	s_waitcnt vmcnt(0)
	v_cmp_ne_u64_e32 vcc, v[2:3], v[12:13]
	s_and_b64 exec, exec, vcc
	s_cbranch_execz .LBB3_251
.LBB3_250:                              ; =>This Inner Loop Header: Depth=1
	s_sleep 1
	global_store_dwordx2 v[8:9], v[2:3], off
	buffer_wbl2
	s_waitcnt vmcnt(0)
	global_atomic_cmpswap_x2 v[12:13], v10, v[0:3], s[10:11] offset:24 glc
	s_waitcnt vmcnt(0)
	v_cmp_eq_u64_e32 vcc, v[12:13], v[2:3]
	s_or_b64 s[4:5], vcc, s[4:5]
	v_pk_mov_b32 v[2:3], v[12:13], v[12:13] op_sel:[0,1]
	s_andn2_b64 exec, exec, s[4:5]
	s_cbranch_execnz .LBB3_250
.LBB3_251:
	s_or_b64 exec, exec, s[12:13]
.LBB3_252:
	v_readfirstlane_b32 s4, v37
	v_cmp_eq_u32_e64 s[4:5], s4, v37
	v_pk_mov_b32 v[10:11], 0, 0
	s_and_saveexec_b64 s[6:7], s[4:5]
	s_cbranch_execz .LBB3_258
; %bb.253:
	s_waitcnt vmcnt(0)
	v_mov_b32_e32 v0, 0
	global_load_dwordx2 v[12:13], v0, s[10:11] offset:24 glc
	s_waitcnt vmcnt(0)
	buffer_invl2
	buffer_wbinvl1_vol
	global_load_dwordx2 v[2:3], v0, s[10:11] offset:40
	global_load_dwordx2 v[8:9], v0, s[10:11]
	s_waitcnt vmcnt(1)
	v_and_b32_e32 v1, v2, v12
	v_and_b32_e32 v2, v3, v13
	v_mul_lo_u32 v2, v2, 24
	v_mul_hi_u32 v3, v1, 24
	v_mul_lo_u32 v1, v1, 24
	v_add_u32_e32 v3, v3, v2
	s_waitcnt vmcnt(0)
	v_add_co_u32_e32 v2, vcc, v8, v1
	v_addc_co_u32_e32 v3, vcc, v9, v3, vcc
	global_load_dwordx2 v[10:11], v[2:3], off glc
	s_waitcnt vmcnt(0)
	global_atomic_cmpswap_x2 v[10:11], v0, v[10:13], s[10:11] offset:24 glc
	s_waitcnt vmcnt(0)
	buffer_invl2
	buffer_wbinvl1_vol
	v_cmp_ne_u64_e32 vcc, v[10:11], v[12:13]
	s_and_saveexec_b64 s[12:13], vcc
	s_cbranch_execz .LBB3_257
; %bb.254:
	s_mov_b64 s[14:15], 0
.LBB3_255:                              ; =>This Inner Loop Header: Depth=1
	s_sleep 1
	global_load_dwordx2 v[2:3], v0, s[10:11] offset:40
	global_load_dwordx2 v[8:9], v0, s[10:11]
	v_pk_mov_b32 v[12:13], v[10:11], v[10:11] op_sel:[0,1]
	s_waitcnt vmcnt(1)
	v_and_b32_e32 v2, v2, v12
	v_and_b32_e32 v1, v3, v13
	s_waitcnt vmcnt(0)
	v_mad_u64_u32 v[2:3], s[16:17], v2, 24, v[8:9]
	v_mov_b32_e32 v8, v3
	v_mad_u64_u32 v[8:9], s[16:17], v1, 24, v[8:9]
	v_mov_b32_e32 v3, v8
	global_load_dwordx2 v[10:11], v[2:3], off glc
	s_waitcnt vmcnt(0)
	global_atomic_cmpswap_x2 v[10:11], v0, v[10:13], s[10:11] offset:24 glc
	s_waitcnt vmcnt(0)
	buffer_invl2
	buffer_wbinvl1_vol
	v_cmp_eq_u64_e32 vcc, v[10:11], v[12:13]
	s_or_b64 s[14:15], vcc, s[14:15]
	s_andn2_b64 exec, exec, s[14:15]
	s_cbranch_execnz .LBB3_255
; %bb.256:
	s_or_b64 exec, exec, s[14:15]
.LBB3_257:
	s_or_b64 exec, exec, s[12:13]
.LBB3_258:
	s_or_b64 exec, exec, s[6:7]
	s_waitcnt vmcnt(0)
	v_mov_b32_e32 v9, 0
	global_load_dwordx2 v[12:13], v9, s[10:11] offset:40
	global_load_dwordx4 v[0:3], v9, s[10:11]
	v_readfirstlane_b32 s6, v10
	v_readfirstlane_b32 s7, v11
	s_mov_b64 s[12:13], exec
	s_waitcnt vmcnt(1)
	v_readfirstlane_b32 s14, v12
	v_readfirstlane_b32 s15, v13
	s_and_b64 s[14:15], s[6:7], s[14:15]
	s_mul_i32 s16, s15, 24
	s_mul_hi_u32 s17, s14, 24
	s_mul_i32 s18, s14, 24
	s_add_i32 s16, s17, s16
	v_mov_b32_e32 v8, s16
	s_waitcnt vmcnt(0)
	v_add_co_u32_e32 v10, vcc, s18, v0
	v_addc_co_u32_e32 v11, vcc, v1, v8, vcc
	s_and_saveexec_b64 s[16:17], s[4:5]
	s_cbranch_execz .LBB3_260
; %bb.259:
	v_pk_mov_b32 v[12:13], s[12:13], s[12:13] op_sel:[0,1]
	v_mov_b32_e32 v14, 2
	v_mov_b32_e32 v15, 1
	global_store_dwordx4 v[10:11], v[12:15], off offset:8
.LBB3_260:
	s_or_b64 exec, exec, s[16:17]
	s_lshl_b64 s[12:13], s[14:15], 12
	v_mov_b32_e32 v8, s13
	v_add_co_u32_e32 v2, vcc, s12, v2
	s_movk_i32 s12, 0xff1f
	v_addc_co_u32_e32 v3, vcc, v3, v8, vcc
	v_and_or_b32 v6, v6, s12, 32
	s_mov_b32 s12, 0
	v_mov_b32_e32 v8, 0x331
	v_readfirstlane_b32 s16, v2
	v_readfirstlane_b32 s17, v3
	s_mov_b32 s13, s12
	v_add_co_u32_e32 v12, vcc, v2, v36
	s_mov_b32 s14, s12
	s_mov_b32 s15, s12
	s_nop 0
	global_store_dwordx4 v36, v[6:9], s[16:17]
	v_addc_co_u32_e32 v13, vcc, 0, v3, vcc
	v_pk_mov_b32 v[6:7], s[12:13], s[12:13] op_sel:[0,1]
	v_pk_mov_b32 v[8:9], s[14:15], s[14:15] op_sel:[0,1]
	global_store_dwordx4 v36, v[6:9], s[16:17] offset:16
	global_store_dwordx4 v36, v[6:9], s[16:17] offset:32
	;; [unrolled: 1-line block ×3, first 2 shown]
	s_and_saveexec_b64 s[12:13], s[4:5]
	s_cbranch_execz .LBB3_268
; %bb.261:
	v_mov_b32_e32 v8, 0
	global_load_dwordx2 v[16:17], v8, s[10:11] offset:32 glc
	global_load_dwordx2 v[2:3], v8, s[10:11] offset:40
	v_mov_b32_e32 v14, s6
	v_mov_b32_e32 v15, s7
	s_waitcnt vmcnt(0)
	v_readfirstlane_b32 s14, v2
	v_readfirstlane_b32 s15, v3
	s_and_b64 s[14:15], s[14:15], s[6:7]
	s_mul_i32 s15, s15, 24
	s_mul_hi_u32 s16, s14, 24
	s_mul_i32 s14, s14, 24
	s_add_i32 s15, s16, s15
	v_mov_b32_e32 v2, s15
	v_add_co_u32_e32 v6, vcc, s14, v0
	v_addc_co_u32_e32 v7, vcc, v1, v2, vcc
	global_store_dwordx2 v[6:7], v[16:17], off
	buffer_wbl2
	s_waitcnt vmcnt(0)
	global_atomic_cmpswap_x2 v[2:3], v8, v[14:17], s[10:11] offset:32 glc
	s_waitcnt vmcnt(0)
	v_cmp_ne_u64_e32 vcc, v[2:3], v[16:17]
	s_and_saveexec_b64 s[14:15], vcc
	s_cbranch_execz .LBB3_264
; %bb.262:
	s_mov_b64 s[16:17], 0
.LBB3_263:                              ; =>This Inner Loop Header: Depth=1
	s_sleep 1
	global_store_dwordx2 v[6:7], v[2:3], off
	v_mov_b32_e32 v0, s6
	v_mov_b32_e32 v1, s7
	buffer_wbl2
	s_waitcnt vmcnt(0)
	global_atomic_cmpswap_x2 v[0:1], v8, v[0:3], s[10:11] offset:32 glc
	s_waitcnt vmcnt(0)
	v_cmp_eq_u64_e32 vcc, v[0:1], v[2:3]
	s_or_b64 s[16:17], vcc, s[16:17]
	v_pk_mov_b32 v[2:3], v[0:1], v[0:1] op_sel:[0,1]
	s_andn2_b64 exec, exec, s[16:17]
	s_cbranch_execnz .LBB3_263
.LBB3_264:
	s_or_b64 exec, exec, s[14:15]
	v_mov_b32_e32 v3, 0
	global_load_dwordx2 v[0:1], v3, s[10:11] offset:16
	s_mov_b64 s[14:15], exec
	v_mbcnt_lo_u32_b32 v2, s14, 0
	v_mbcnt_hi_u32_b32 v2, s15, v2
	v_cmp_eq_u32_e32 vcc, 0, v2
	s_and_saveexec_b64 s[16:17], vcc
	s_cbranch_execz .LBB3_266
; %bb.265:
	s_bcnt1_i32_b64 s14, s[14:15]
	v_mov_b32_e32 v2, s14
	buffer_wbl2
	s_waitcnt vmcnt(0)
	global_atomic_add_x2 v[0:1], v[2:3], off offset:8
.LBB3_266:
	s_or_b64 exec, exec, s[16:17]
	s_waitcnt vmcnt(0)
	global_load_dwordx2 v[2:3], v[0:1], off offset:16
	s_waitcnt vmcnt(0)
	v_cmp_eq_u64_e32 vcc, 0, v[2:3]
	s_cbranch_vccnz .LBB3_268
; %bb.267:
	global_load_dword v0, v[0:1], off offset:24
	v_mov_b32_e32 v1, 0
	buffer_wbl2
	s_waitcnt vmcnt(0)
	global_store_dwordx2 v[2:3], v[0:1], off
	v_and_b32_e32 v0, 0xffffff, v0
	v_readfirstlane_b32 m0, v0
	s_sendmsg sendmsg(MSG_INTERRUPT)
.LBB3_268:
	s_or_b64 exec, exec, s[12:13]
	s_branch .LBB3_272
.LBB3_269:                              ;   in Loop: Header=BB3_272 Depth=1
	s_or_b64 exec, exec, s[12:13]
	v_readfirstlane_b32 s12, v0
	s_cmp_eq_u32 s12, 0
	s_cbranch_scc1 .LBB3_271
; %bb.270:                              ;   in Loop: Header=BB3_272 Depth=1
	s_sleep 1
	s_cbranch_execnz .LBB3_272
	s_branch .LBB3_274
.LBB3_271:
	s_branch .LBB3_274
.LBB3_272:                              ; =>This Inner Loop Header: Depth=1
	v_mov_b32_e32 v0, 1
	s_and_saveexec_b64 s[12:13], s[4:5]
	s_cbranch_execz .LBB3_269
; %bb.273:                              ;   in Loop: Header=BB3_272 Depth=1
	global_load_dword v0, v[10:11], off offset:20 glc
	s_waitcnt vmcnt(0)
	buffer_invl2
	buffer_wbinvl1_vol
	v_and_b32_e32 v0, 1, v0
	s_branch .LBB3_269
.LBB3_274:
	global_load_dwordx2 v[0:1], v[12:13], off
	s_and_saveexec_b64 s[12:13], s[4:5]
	s_cbranch_execz .LBB3_277
; %bb.275:
	v_mov_b32_e32 v10, 0
	global_load_dwordx2 v[2:3], v10, s[10:11] offset:40
	global_load_dwordx2 v[12:13], v10, s[10:11] offset:24 glc
	global_load_dwordx2 v[14:15], v10, s[10:11]
	v_mov_b32_e32 v7, s7
	s_mov_b64 s[4:5], 0
	s_waitcnt vmcnt(2)
	v_add_co_u32_e32 v9, vcc, 1, v2
	v_addc_co_u32_e32 v11, vcc, 0, v3, vcc
	v_add_co_u32_e32 v6, vcc, s6, v9
	v_addc_co_u32_e32 v7, vcc, v11, v7, vcc
	v_cmp_eq_u64_e32 vcc, 0, v[6:7]
	v_cndmask_b32_e32 v7, v7, v11, vcc
	v_cndmask_b32_e32 v6, v6, v9, vcc
	v_and_b32_e32 v3, v7, v3
	v_and_b32_e32 v2, v6, v2
	v_mul_lo_u32 v3, v3, 24
	v_mul_hi_u32 v9, v2, 24
	v_mul_lo_u32 v2, v2, 24
	v_add_u32_e32 v3, v9, v3
	s_waitcnt vmcnt(0)
	v_add_co_u32_e32 v2, vcc, v14, v2
	v_addc_co_u32_e32 v3, vcc, v15, v3, vcc
	v_mov_b32_e32 v8, v12
	global_store_dwordx2 v[2:3], v[12:13], off
	v_mov_b32_e32 v9, v13
	buffer_wbl2
	s_waitcnt vmcnt(0)
	global_atomic_cmpswap_x2 v[8:9], v10, v[6:9], s[10:11] offset:24 glc
	s_waitcnt vmcnt(0)
	v_cmp_ne_u64_e32 vcc, v[8:9], v[12:13]
	s_and_b64 exec, exec, vcc
	s_cbranch_execz .LBB3_277
.LBB3_276:                              ; =>This Inner Loop Header: Depth=1
	s_sleep 1
	global_store_dwordx2 v[2:3], v[8:9], off
	buffer_wbl2
	s_waitcnt vmcnt(0)
	global_atomic_cmpswap_x2 v[12:13], v10, v[6:9], s[10:11] offset:24 glc
	s_waitcnt vmcnt(0)
	v_cmp_eq_u64_e32 vcc, v[12:13], v[8:9]
	s_or_b64 s[4:5], vcc, s[4:5]
	v_pk_mov_b32 v[8:9], v[12:13], v[12:13] op_sel:[0,1]
	s_andn2_b64 exec, exec, s[4:5]
	s_cbranch_execnz .LBB3_276
.LBB3_277:
	s_or_b64 exec, exec, s[12:13]
	s_mov_b64 s[4:5], 0
	v_pk_mov_b32 v[6:7], v[4:5], v[4:5] op_sel:[0,1]
.LBB3_278:                              ; =>This Inner Loop Header: Depth=1
	flat_load_ubyte v8, v[6:7]
	v_add_co_u32_e32 v2, vcc, 1, v6
	v_addc_co_u32_e32 v3, vcc, 0, v7, vcc
	v_pk_mov_b32 v[6:7], v[2:3], v[2:3] op_sel:[0,1]
	s_waitcnt vmcnt(0) lgkmcnt(0)
	v_cmp_eq_u16_e32 vcc, 0, v8
	s_or_b64 s[4:5], vcc, s[4:5]
	s_andn2_b64 exec, exec, s[4:5]
	s_cbranch_execnz .LBB3_278
; %bb.279:
	s_or_b64 exec, exec, s[4:5]
	s_mov_b64 s[6:7], 0
	v_cmp_ne_u64_e32 vcc, 0, v[4:5]
	s_and_saveexec_b64 s[4:5], vcc
	s_xor_b64 s[12:13], exec, s[4:5]
	s_cbranch_execz .LBB3_365
; %bb.280:
	v_sub_u32_e32 v26, v2, v4
	v_ashrrev_i32_e32 v27, 31, v26
	v_and_b32_e32 v28, 2, v0
	v_mov_b32_e32 v31, 0
	v_and_b32_e32 v0, -3, v0
	s_mov_b32 s22, 0
	s_movk_i32 s23, 0xff1f
	v_mov_b32_e32 v8, 2
	v_mov_b32_e32 v9, 1
	s_branch .LBB3_282
.LBB3_281:                              ;   in Loop: Header=BB3_282 Depth=1
	s_or_b64 exec, exec, s[16:17]
	v_sub_co_u32_e32 v26, vcc, v26, v32
	v_subb_co_u32_e32 v27, vcc, v27, v33, vcc
	v_cmp_eq_u64_e32 vcc, 0, v[26:27]
	s_or_b64 s[6:7], vcc, s[6:7]
	v_add_co_u32_e32 v4, vcc, v4, v32
	v_addc_co_u32_e32 v5, vcc, v5, v33, vcc
	s_andn2_b64 exec, exec, s[6:7]
	s_cbranch_execz .LBB3_364
.LBB3_282:                              ; =>This Loop Header: Depth=1
                                        ;     Child Loop BB3_285 Depth 2
                                        ;     Child Loop BB3_293 Depth 2
	;; [unrolled: 1-line block ×11, first 2 shown]
	v_cmp_gt_u64_e32 vcc, 56, v[26:27]
	v_cndmask_b32_e32 v33, 0, v27, vcc
	v_cndmask_b32_e32 v32, 56, v26, vcc
	v_cmp_gt_u64_e32 vcc, 8, v[26:27]
                                        ; implicit-def: $vgpr2_vgpr3
                                        ; implicit-def: $sgpr14
	s_and_saveexec_b64 s[4:5], vcc
	s_xor_b64 s[4:5], exec, s[4:5]
	s_cbranch_execz .LBB3_288
; %bb.283:                              ;   in Loop: Header=BB3_282 Depth=1
	s_mov_b64 s[16:17], 0
	v_cmp_ne_u64_e32 vcc, 0, v[26:27]
	s_waitcnt vmcnt(0)
	v_pk_mov_b32 v[2:3], 0, 0
	s_and_saveexec_b64 s[14:15], vcc
	s_cbranch_execz .LBB3_287
; %bb.284:                              ;   in Loop: Header=BB3_282 Depth=1
	v_lshlrev_b64 v[6:7], 3, v[32:33]
	v_pk_mov_b32 v[2:3], 0, 0
	v_pk_mov_b32 v[10:11], v[4:5], v[4:5] op_sel:[0,1]
	s_mov_b64 s[18:19], 0
.LBB3_285:                              ;   Parent Loop BB3_282 Depth=1
                                        ; =>  This Inner Loop Header: Depth=2
	flat_load_ubyte v7, v[10:11]
	v_mov_b32_e32 v13, s22
	v_add_co_u32_e32 v10, vcc, 1, v10
	v_addc_co_u32_e32 v11, vcc, 0, v11, vcc
	s_waitcnt vmcnt(0) lgkmcnt(0)
	v_and_b32_e32 v12, 0xffff, v7
	v_lshlrev_b64 v[12:13], s18, v[12:13]
	s_add_u32 s18, s18, 8
	s_addc_u32 s19, s19, 0
	v_cmp_eq_u32_e32 vcc, s18, v6
	v_or_b32_e32 v3, v13, v3
	s_or_b64 s[16:17], vcc, s[16:17]
	v_or_b32_e32 v2, v12, v2
	s_andn2_b64 exec, exec, s[16:17]
	s_cbranch_execnz .LBB3_285
; %bb.286:                              ;   in Loop: Header=BB3_282 Depth=1
	s_or_b64 exec, exec, s[16:17]
.LBB3_287:                              ;   in Loop: Header=BB3_282 Depth=1
	s_or_b64 exec, exec, s[14:15]
	s_mov_b32 s14, 0
.LBB3_288:                              ;   in Loop: Header=BB3_282 Depth=1
	s_or_saveexec_b64 s[4:5], s[4:5]
	v_mov_b32_e32 v12, s14
	v_pk_mov_b32 v[6:7], v[4:5], v[4:5] op_sel:[0,1]
	s_xor_b64 exec, exec, s[4:5]
	s_cbranch_execz .LBB3_290
; %bb.289:                              ;   in Loop: Header=BB3_282 Depth=1
	s_waitcnt vmcnt(0)
	flat_load_dwordx2 v[2:3], v[4:5]
	v_add_u32_e32 v12, -8, v32
	s_waitcnt vmcnt(0) lgkmcnt(0)
	v_and_b32_e32 v6, 0xff, v3
	v_and_b32_e32 v7, 0xff00, v3
	;; [unrolled: 1-line block ×4, first 2 shown]
	v_or_b32_e32 v6, v6, v7
	v_or3_b32 v3, v6, v10, v3
	v_add_co_u32_e32 v6, vcc, 8, v4
	v_or3_b32 v2, v2, 0, 0
	v_addc_co_u32_e32 v7, vcc, 0, v5, vcc
.LBB3_290:                              ;   in Loop: Header=BB3_282 Depth=1
	s_or_b64 exec, exec, s[4:5]
	v_cmp_gt_u32_e32 vcc, 8, v12
                                        ; implicit-def: $vgpr10_vgpr11
                                        ; implicit-def: $sgpr14
	s_and_saveexec_b64 s[4:5], vcc
	s_xor_b64 s[4:5], exec, s[4:5]
	s_cbranch_execz .LBB3_296
; %bb.291:                              ;   in Loop: Header=BB3_282 Depth=1
	v_cmp_ne_u32_e32 vcc, 0, v12
	v_pk_mov_b32 v[10:11], 0, 0
	s_and_saveexec_b64 s[14:15], vcc
	s_cbranch_execz .LBB3_295
; %bb.292:                              ;   in Loop: Header=BB3_282 Depth=1
	s_mov_b64 s[16:17], 0
	v_pk_mov_b32 v[10:11], 0, 0
	s_mov_b64 s[18:19], 0
	s_mov_b64 s[20:21], 0
.LBB3_293:                              ;   Parent Loop BB3_282 Depth=1
                                        ; =>  This Inner Loop Header: Depth=2
	v_mov_b32_e32 v13, s21
	v_add_co_u32_e32 v14, vcc, s20, v6
	v_addc_co_u32_e32 v15, vcc, v7, v13, vcc
	flat_load_ubyte v13, v[14:15]
	s_add_u32 s20, s20, 1
	v_mov_b32_e32 v15, s22
	s_addc_u32 s21, s21, 0
	v_cmp_eq_u32_e32 vcc, s20, v12
	s_waitcnt vmcnt(0) lgkmcnt(0)
	v_and_b32_e32 v14, 0xffff, v13
	v_lshlrev_b64 v[14:15], s18, v[14:15]
	s_add_u32 s18, s18, 8
	s_addc_u32 s19, s19, 0
	v_or_b32_e32 v11, v15, v11
	s_or_b64 s[16:17], vcc, s[16:17]
	v_or_b32_e32 v10, v14, v10
	s_andn2_b64 exec, exec, s[16:17]
	s_cbranch_execnz .LBB3_293
; %bb.294:                              ;   in Loop: Header=BB3_282 Depth=1
	s_or_b64 exec, exec, s[16:17]
.LBB3_295:                              ;   in Loop: Header=BB3_282 Depth=1
	s_or_b64 exec, exec, s[14:15]
	s_mov_b32 s14, 0
                                        ; implicit-def: $vgpr12
.LBB3_296:                              ;   in Loop: Header=BB3_282 Depth=1
	s_or_saveexec_b64 s[4:5], s[4:5]
	v_mov_b32_e32 v14, s14
	s_xor_b64 exec, exec, s[4:5]
	s_cbranch_execz .LBB3_298
; %bb.297:                              ;   in Loop: Header=BB3_282 Depth=1
	flat_load_dwordx2 v[10:11], v[6:7]
	v_add_u32_e32 v14, -8, v12
	v_add_co_u32_e32 v6, vcc, 8, v6
	v_addc_co_u32_e32 v7, vcc, 0, v7, vcc
	s_waitcnt vmcnt(0) lgkmcnt(0)
	v_and_b32_e32 v12, 0xff, v11
	v_and_b32_e32 v13, 0xff00, v11
	;; [unrolled: 1-line block ×4, first 2 shown]
	v_or_b32_e32 v12, v12, v13
	v_or3_b32 v10, v10, 0, 0
	v_or3_b32 v11, v12, v15, v11
.LBB3_298:                              ;   in Loop: Header=BB3_282 Depth=1
	s_or_b64 exec, exec, s[4:5]
	v_cmp_gt_u32_e32 vcc, 8, v14
                                        ; implicit-def: $sgpr14
	s_and_saveexec_b64 s[4:5], vcc
	s_xor_b64 s[4:5], exec, s[4:5]
	s_cbranch_execz .LBB3_304
; %bb.299:                              ;   in Loop: Header=BB3_282 Depth=1
	v_cmp_ne_u32_e32 vcc, 0, v14
	v_pk_mov_b32 v[12:13], 0, 0
	s_and_saveexec_b64 s[14:15], vcc
	s_cbranch_execz .LBB3_303
; %bb.300:                              ;   in Loop: Header=BB3_282 Depth=1
	s_mov_b64 s[16:17], 0
	v_pk_mov_b32 v[12:13], 0, 0
	s_mov_b64 s[18:19], 0
	s_mov_b64 s[20:21], 0
.LBB3_301:                              ;   Parent Loop BB3_282 Depth=1
                                        ; =>  This Inner Loop Header: Depth=2
	v_mov_b32_e32 v15, s21
	v_add_co_u32_e32 v16, vcc, s20, v6
	v_addc_co_u32_e32 v17, vcc, v7, v15, vcc
	flat_load_ubyte v15, v[16:17]
	s_add_u32 s20, s20, 1
	v_mov_b32_e32 v17, s22
	s_addc_u32 s21, s21, 0
	v_cmp_eq_u32_e32 vcc, s20, v14
	s_waitcnt vmcnt(0) lgkmcnt(0)
	v_and_b32_e32 v16, 0xffff, v15
	v_lshlrev_b64 v[16:17], s18, v[16:17]
	s_add_u32 s18, s18, 8
	s_addc_u32 s19, s19, 0
	v_or_b32_e32 v13, v17, v13
	s_or_b64 s[16:17], vcc, s[16:17]
	v_or_b32_e32 v12, v16, v12
	s_andn2_b64 exec, exec, s[16:17]
	s_cbranch_execnz .LBB3_301
; %bb.302:                              ;   in Loop: Header=BB3_282 Depth=1
	s_or_b64 exec, exec, s[16:17]
.LBB3_303:                              ;   in Loop: Header=BB3_282 Depth=1
	s_or_b64 exec, exec, s[14:15]
	s_mov_b32 s14, 0
                                        ; implicit-def: $vgpr14
.LBB3_304:                              ;   in Loop: Header=BB3_282 Depth=1
	s_or_saveexec_b64 s[4:5], s[4:5]
	v_mov_b32_e32 v16, s14
	s_xor_b64 exec, exec, s[4:5]
	s_cbranch_execz .LBB3_306
; %bb.305:                              ;   in Loop: Header=BB3_282 Depth=1
	flat_load_dwordx2 v[12:13], v[6:7]
	v_add_u32_e32 v16, -8, v14
	v_add_co_u32_e32 v6, vcc, 8, v6
	v_addc_co_u32_e32 v7, vcc, 0, v7, vcc
	s_waitcnt vmcnt(0) lgkmcnt(0)
	v_and_b32_e32 v14, 0xff, v13
	v_and_b32_e32 v15, 0xff00, v13
	;; [unrolled: 1-line block ×4, first 2 shown]
	v_or_b32_e32 v14, v14, v15
	v_or3_b32 v12, v12, 0, 0
	v_or3_b32 v13, v14, v17, v13
.LBB3_306:                              ;   in Loop: Header=BB3_282 Depth=1
	s_or_b64 exec, exec, s[4:5]
	v_cmp_gt_u32_e32 vcc, 8, v16
                                        ; implicit-def: $vgpr14_vgpr15
                                        ; implicit-def: $sgpr14
	s_and_saveexec_b64 s[4:5], vcc
	s_xor_b64 s[4:5], exec, s[4:5]
	s_cbranch_execz .LBB3_312
; %bb.307:                              ;   in Loop: Header=BB3_282 Depth=1
	v_cmp_ne_u32_e32 vcc, 0, v16
	v_pk_mov_b32 v[14:15], 0, 0
	s_and_saveexec_b64 s[14:15], vcc
	s_cbranch_execz .LBB3_311
; %bb.308:                              ;   in Loop: Header=BB3_282 Depth=1
	s_mov_b64 s[16:17], 0
	v_pk_mov_b32 v[14:15], 0, 0
	s_mov_b64 s[18:19], 0
	s_mov_b64 s[20:21], 0
.LBB3_309:                              ;   Parent Loop BB3_282 Depth=1
                                        ; =>  This Inner Loop Header: Depth=2
	v_mov_b32_e32 v17, s21
	v_add_co_u32_e32 v18, vcc, s20, v6
	v_addc_co_u32_e32 v19, vcc, v7, v17, vcc
	flat_load_ubyte v17, v[18:19]
	s_add_u32 s20, s20, 1
	v_mov_b32_e32 v19, s22
	s_addc_u32 s21, s21, 0
	v_cmp_eq_u32_e32 vcc, s20, v16
	s_waitcnt vmcnt(0) lgkmcnt(0)
	v_and_b32_e32 v18, 0xffff, v17
	v_lshlrev_b64 v[18:19], s18, v[18:19]
	s_add_u32 s18, s18, 8
	s_addc_u32 s19, s19, 0
	v_or_b32_e32 v15, v19, v15
	s_or_b64 s[16:17], vcc, s[16:17]
	v_or_b32_e32 v14, v18, v14
	s_andn2_b64 exec, exec, s[16:17]
	s_cbranch_execnz .LBB3_309
; %bb.310:                              ;   in Loop: Header=BB3_282 Depth=1
	s_or_b64 exec, exec, s[16:17]
.LBB3_311:                              ;   in Loop: Header=BB3_282 Depth=1
	s_or_b64 exec, exec, s[14:15]
	s_mov_b32 s14, 0
                                        ; implicit-def: $vgpr16
.LBB3_312:                              ;   in Loop: Header=BB3_282 Depth=1
	s_or_saveexec_b64 s[4:5], s[4:5]
	v_mov_b32_e32 v18, s14
	s_xor_b64 exec, exec, s[4:5]
	s_cbranch_execz .LBB3_314
; %bb.313:                              ;   in Loop: Header=BB3_282 Depth=1
	flat_load_dwordx2 v[14:15], v[6:7]
	v_add_u32_e32 v18, -8, v16
	v_add_co_u32_e32 v6, vcc, 8, v6
	v_addc_co_u32_e32 v7, vcc, 0, v7, vcc
	s_waitcnt vmcnt(0) lgkmcnt(0)
	v_and_b32_e32 v16, 0xff, v15
	v_and_b32_e32 v17, 0xff00, v15
	;; [unrolled: 1-line block ×4, first 2 shown]
	v_or_b32_e32 v16, v16, v17
	v_or3_b32 v14, v14, 0, 0
	v_or3_b32 v15, v16, v19, v15
.LBB3_314:                              ;   in Loop: Header=BB3_282 Depth=1
	s_or_b64 exec, exec, s[4:5]
	v_cmp_gt_u32_e32 vcc, 8, v18
                                        ; implicit-def: $sgpr14
	s_and_saveexec_b64 s[4:5], vcc
	s_xor_b64 s[4:5], exec, s[4:5]
	s_cbranch_execz .LBB3_320
; %bb.315:                              ;   in Loop: Header=BB3_282 Depth=1
	v_cmp_ne_u32_e32 vcc, 0, v18
	v_pk_mov_b32 v[16:17], 0, 0
	s_and_saveexec_b64 s[14:15], vcc
	s_cbranch_execz .LBB3_319
; %bb.316:                              ;   in Loop: Header=BB3_282 Depth=1
	s_mov_b64 s[16:17], 0
	v_pk_mov_b32 v[16:17], 0, 0
	s_mov_b64 s[18:19], 0
	s_mov_b64 s[20:21], 0
.LBB3_317:                              ;   Parent Loop BB3_282 Depth=1
                                        ; =>  This Inner Loop Header: Depth=2
	v_mov_b32_e32 v19, s21
	v_add_co_u32_e32 v20, vcc, s20, v6
	v_addc_co_u32_e32 v21, vcc, v7, v19, vcc
	flat_load_ubyte v19, v[20:21]
	s_add_u32 s20, s20, 1
	v_mov_b32_e32 v21, s22
	s_addc_u32 s21, s21, 0
	v_cmp_eq_u32_e32 vcc, s20, v18
	s_waitcnt vmcnt(0) lgkmcnt(0)
	v_and_b32_e32 v20, 0xffff, v19
	v_lshlrev_b64 v[20:21], s18, v[20:21]
	s_add_u32 s18, s18, 8
	s_addc_u32 s19, s19, 0
	v_or_b32_e32 v17, v21, v17
	s_or_b64 s[16:17], vcc, s[16:17]
	v_or_b32_e32 v16, v20, v16
	s_andn2_b64 exec, exec, s[16:17]
	s_cbranch_execnz .LBB3_317
; %bb.318:                              ;   in Loop: Header=BB3_282 Depth=1
	s_or_b64 exec, exec, s[16:17]
.LBB3_319:                              ;   in Loop: Header=BB3_282 Depth=1
	s_or_b64 exec, exec, s[14:15]
	s_mov_b32 s14, 0
                                        ; implicit-def: $vgpr18
.LBB3_320:                              ;   in Loop: Header=BB3_282 Depth=1
	s_or_saveexec_b64 s[4:5], s[4:5]
	v_mov_b32_e32 v20, s14
	s_xor_b64 exec, exec, s[4:5]
	s_cbranch_execz .LBB3_322
; %bb.321:                              ;   in Loop: Header=BB3_282 Depth=1
	flat_load_dwordx2 v[16:17], v[6:7]
	v_add_u32_e32 v20, -8, v18
	v_add_co_u32_e32 v6, vcc, 8, v6
	v_addc_co_u32_e32 v7, vcc, 0, v7, vcc
	s_waitcnt vmcnt(0) lgkmcnt(0)
	v_and_b32_e32 v18, 0xff, v17
	v_and_b32_e32 v19, 0xff00, v17
	;; [unrolled: 1-line block ×4, first 2 shown]
	v_or_b32_e32 v18, v18, v19
	v_or3_b32 v16, v16, 0, 0
	v_or3_b32 v17, v18, v21, v17
.LBB3_322:                              ;   in Loop: Header=BB3_282 Depth=1
	s_or_b64 exec, exec, s[4:5]
	v_cmp_gt_u32_e32 vcc, 8, v20
                                        ; implicit-def: $vgpr18_vgpr19
                                        ; implicit-def: $sgpr14
	s_and_saveexec_b64 s[4:5], vcc
	s_xor_b64 s[4:5], exec, s[4:5]
	s_cbranch_execz .LBB3_328
; %bb.323:                              ;   in Loop: Header=BB3_282 Depth=1
	v_cmp_ne_u32_e32 vcc, 0, v20
	v_pk_mov_b32 v[18:19], 0, 0
	s_and_saveexec_b64 s[14:15], vcc
	s_cbranch_execz .LBB3_327
; %bb.324:                              ;   in Loop: Header=BB3_282 Depth=1
	s_mov_b64 s[16:17], 0
	v_pk_mov_b32 v[18:19], 0, 0
	s_mov_b64 s[18:19], 0
	s_mov_b64 s[20:21], 0
.LBB3_325:                              ;   Parent Loop BB3_282 Depth=1
                                        ; =>  This Inner Loop Header: Depth=2
	v_mov_b32_e32 v21, s21
	v_add_co_u32_e32 v22, vcc, s20, v6
	v_addc_co_u32_e32 v23, vcc, v7, v21, vcc
	flat_load_ubyte v21, v[22:23]
	s_add_u32 s20, s20, 1
	v_mov_b32_e32 v23, s22
	s_addc_u32 s21, s21, 0
	v_cmp_eq_u32_e32 vcc, s20, v20
	s_waitcnt vmcnt(0) lgkmcnt(0)
	v_and_b32_e32 v22, 0xffff, v21
	v_lshlrev_b64 v[22:23], s18, v[22:23]
	s_add_u32 s18, s18, 8
	s_addc_u32 s19, s19, 0
	v_or_b32_e32 v19, v23, v19
	s_or_b64 s[16:17], vcc, s[16:17]
	v_or_b32_e32 v18, v22, v18
	s_andn2_b64 exec, exec, s[16:17]
	s_cbranch_execnz .LBB3_325
; %bb.326:                              ;   in Loop: Header=BB3_282 Depth=1
	s_or_b64 exec, exec, s[16:17]
.LBB3_327:                              ;   in Loop: Header=BB3_282 Depth=1
	s_or_b64 exec, exec, s[14:15]
	s_mov_b32 s14, 0
                                        ; implicit-def: $vgpr20
.LBB3_328:                              ;   in Loop: Header=BB3_282 Depth=1
	s_or_saveexec_b64 s[4:5], s[4:5]
	v_mov_b32_e32 v22, s14
	s_xor_b64 exec, exec, s[4:5]
	s_cbranch_execz .LBB3_330
; %bb.329:                              ;   in Loop: Header=BB3_282 Depth=1
	flat_load_dwordx2 v[18:19], v[6:7]
	v_add_u32_e32 v22, -8, v20
	v_add_co_u32_e32 v6, vcc, 8, v6
	v_addc_co_u32_e32 v7, vcc, 0, v7, vcc
	s_waitcnt vmcnt(0) lgkmcnt(0)
	v_and_b32_e32 v20, 0xff, v19
	v_and_b32_e32 v21, 0xff00, v19
	;; [unrolled: 1-line block ×4, first 2 shown]
	v_or_b32_e32 v20, v20, v21
	v_or3_b32 v18, v18, 0, 0
	v_or3_b32 v19, v20, v23, v19
.LBB3_330:                              ;   in Loop: Header=BB3_282 Depth=1
	s_or_b64 exec, exec, s[4:5]
	v_cmp_gt_u32_e32 vcc, 8, v22
	s_and_saveexec_b64 s[4:5], vcc
	s_xor_b64 s[4:5], exec, s[4:5]
	s_cbranch_execz .LBB3_336
; %bb.331:                              ;   in Loop: Header=BB3_282 Depth=1
	v_cmp_ne_u32_e32 vcc, 0, v22
	v_pk_mov_b32 v[20:21], 0, 0
	s_and_saveexec_b64 s[14:15], vcc
	s_cbranch_execz .LBB3_335
; %bb.332:                              ;   in Loop: Header=BB3_282 Depth=1
	s_mov_b64 s[16:17], 0
	v_pk_mov_b32 v[20:21], 0, 0
	s_mov_b64 s[18:19], 0
.LBB3_333:                              ;   Parent Loop BB3_282 Depth=1
                                        ; =>  This Inner Loop Header: Depth=2
	flat_load_ubyte v23, v[6:7]
	v_mov_b32_e32 v25, s22
	v_add_co_u32_e32 v6, vcc, 1, v6
	v_add_u32_e32 v22, -1, v22
	v_addc_co_u32_e32 v7, vcc, 0, v7, vcc
	v_cmp_eq_u32_e32 vcc, 0, v22
	s_waitcnt vmcnt(0) lgkmcnt(0)
	v_and_b32_e32 v24, 0xffff, v23
	v_lshlrev_b64 v[24:25], s18, v[24:25]
	s_add_u32 s18, s18, 8
	s_addc_u32 s19, s19, 0
	v_or_b32_e32 v21, v25, v21
	s_or_b64 s[16:17], vcc, s[16:17]
	v_or_b32_e32 v20, v24, v20
	s_andn2_b64 exec, exec, s[16:17]
	s_cbranch_execnz .LBB3_333
; %bb.334:                              ;   in Loop: Header=BB3_282 Depth=1
	s_or_b64 exec, exec, s[16:17]
.LBB3_335:                              ;   in Loop: Header=BB3_282 Depth=1
	s_or_b64 exec, exec, s[14:15]
                                        ; implicit-def: $vgpr6_vgpr7
.LBB3_336:                              ;   in Loop: Header=BB3_282 Depth=1
	s_andn2_saveexec_b64 s[4:5], s[4:5]
	s_cbranch_execz .LBB3_338
; %bb.337:                              ;   in Loop: Header=BB3_282 Depth=1
	flat_load_dwordx2 v[6:7], v[6:7]
	s_waitcnt vmcnt(0) lgkmcnt(0)
	v_and_b32_e32 v20, 0xff, v7
	v_and_b32_e32 v21, 0xff00, v7
	v_and_b32_e32 v22, 0xff0000, v7
	v_and_b32_e32 v7, 0xff000000, v7
	v_or_b32_e32 v20, v20, v21
	v_or3_b32 v21, v20, v22, v7
	v_or3_b32 v20, v6, 0, 0
.LBB3_338:                              ;   in Loop: Header=BB3_282 Depth=1
	s_or_b64 exec, exec, s[4:5]
	v_readfirstlane_b32 s4, v37
	v_cmp_eq_u32_e64 s[4:5], s4, v37
	v_pk_mov_b32 v[6:7], 0, 0
	s_and_saveexec_b64 s[14:15], s[4:5]
	s_cbranch_execz .LBB3_344
; %bb.339:                              ;   in Loop: Header=BB3_282 Depth=1
	global_load_dwordx2 v[24:25], v31, s[10:11] offset:24 glc
	s_waitcnt vmcnt(0)
	buffer_invl2
	buffer_wbinvl1_vol
	global_load_dwordx2 v[6:7], v31, s[10:11] offset:40
	global_load_dwordx2 v[22:23], v31, s[10:11]
	s_waitcnt vmcnt(1)
	v_and_b32_e32 v6, v6, v24
	v_and_b32_e32 v7, v7, v25
	v_mul_lo_u32 v7, v7, 24
	v_mul_hi_u32 v29, v6, 24
	v_mul_lo_u32 v6, v6, 24
	v_add_u32_e32 v7, v29, v7
	s_waitcnt vmcnt(0)
	v_add_co_u32_e32 v6, vcc, v22, v6
	v_addc_co_u32_e32 v7, vcc, v23, v7, vcc
	global_load_dwordx2 v[22:23], v[6:7], off glc
	s_waitcnt vmcnt(0)
	global_atomic_cmpswap_x2 v[6:7], v31, v[22:25], s[10:11] offset:24 glc
	s_waitcnt vmcnt(0)
	buffer_invl2
	buffer_wbinvl1_vol
	v_cmp_ne_u64_e32 vcc, v[6:7], v[24:25]
	s_and_saveexec_b64 s[16:17], vcc
	s_cbranch_execz .LBB3_343
; %bb.340:                              ;   in Loop: Header=BB3_282 Depth=1
	s_mov_b64 s[18:19], 0
.LBB3_341:                              ;   Parent Loop BB3_282 Depth=1
                                        ; =>  This Inner Loop Header: Depth=2
	s_sleep 1
	global_load_dwordx2 v[22:23], v31, s[10:11] offset:40
	global_load_dwordx2 v[34:35], v31, s[10:11]
	v_pk_mov_b32 v[24:25], v[6:7], v[6:7] op_sel:[0,1]
	s_waitcnt vmcnt(1)
	v_and_b32_e32 v6, v22, v24
	s_waitcnt vmcnt(0)
	v_mad_u64_u32 v[6:7], s[20:21], v6, 24, v[34:35]
	v_and_b32_e32 v23, v23, v25
	v_mov_b32_e32 v22, v7
	v_mad_u64_u32 v[22:23], s[20:21], v23, 24, v[22:23]
	v_mov_b32_e32 v7, v22
	global_load_dwordx2 v[22:23], v[6:7], off glc
	s_waitcnt vmcnt(0)
	global_atomic_cmpswap_x2 v[6:7], v31, v[22:25], s[10:11] offset:24 glc
	s_waitcnt vmcnt(0)
	buffer_invl2
	buffer_wbinvl1_vol
	v_cmp_eq_u64_e32 vcc, v[6:7], v[24:25]
	s_or_b64 s[18:19], vcc, s[18:19]
	s_andn2_b64 exec, exec, s[18:19]
	s_cbranch_execnz .LBB3_341
; %bb.342:                              ;   in Loop: Header=BB3_282 Depth=1
	s_or_b64 exec, exec, s[18:19]
.LBB3_343:                              ;   in Loop: Header=BB3_282 Depth=1
	s_or_b64 exec, exec, s[16:17]
.LBB3_344:                              ;   in Loop: Header=BB3_282 Depth=1
	s_or_b64 exec, exec, s[14:15]
	global_load_dwordx2 v[34:35], v31, s[10:11] offset:40
	global_load_dwordx4 v[22:25], v31, s[10:11]
	v_readfirstlane_b32 s14, v6
	v_readfirstlane_b32 s15, v7
	s_mov_b64 s[16:17], exec
	s_waitcnt vmcnt(1)
	v_readfirstlane_b32 s18, v34
	v_readfirstlane_b32 s19, v35
	s_and_b64 s[18:19], s[14:15], s[18:19]
	s_mul_i32 s20, s19, 24
	s_mul_hi_u32 s21, s18, 24
	s_mul_i32 s24, s18, 24
	s_add_i32 s20, s21, s20
	v_mov_b32_e32 v6, s20
	s_waitcnt vmcnt(0)
	v_add_co_u32_e32 v34, vcc, s24, v22
	v_addc_co_u32_e32 v35, vcc, v23, v6, vcc
	s_and_saveexec_b64 s[20:21], s[4:5]
	s_cbranch_execz .LBB3_346
; %bb.345:                              ;   in Loop: Header=BB3_282 Depth=1
	v_pk_mov_b32 v[6:7], s[16:17], s[16:17] op_sel:[0,1]
	global_store_dwordx4 v[34:35], v[6:9], off offset:8
.LBB3_346:                              ;   in Loop: Header=BB3_282 Depth=1
	s_or_b64 exec, exec, s[20:21]
	s_lshl_b64 s[16:17], s[18:19], 12
	v_mov_b32_e32 v7, s17
	v_add_co_u32_e32 v6, vcc, s16, v24
	v_addc_co_u32_e32 v7, vcc, v25, v7, vcc
	v_or_b32_e32 v24, 0, v1
	v_cmp_lt_u64_e32 vcc, 56, v[26:27]
	v_or_b32_e32 v25, v0, v28
	v_cndmask_b32_e32 v1, v24, v1, vcc
	v_lshl_add_u32 v24, v32, 2, 28
	v_cndmask_b32_e32 v0, v25, v0, vcc
	v_and_b32_e32 v24, 0x1e0, v24
	v_and_or_b32 v0, v0, s23, v24
	v_readfirstlane_b32 s16, v6
	v_readfirstlane_b32 s17, v7
	s_nop 4
	global_store_dwordx4 v36, v[0:3], s[16:17]
	global_store_dwordx4 v36, v[10:13], s[16:17] offset:16
	global_store_dwordx4 v36, v[14:17], s[16:17] offset:32
	;; [unrolled: 1-line block ×3, first 2 shown]
	s_and_saveexec_b64 s[16:17], s[4:5]
	s_cbranch_execz .LBB3_354
; %bb.347:                              ;   in Loop: Header=BB3_282 Depth=1
	global_load_dwordx2 v[14:15], v31, s[10:11] offset:32 glc
	global_load_dwordx2 v[0:1], v31, s[10:11] offset:40
	v_mov_b32_e32 v12, s14
	v_mov_b32_e32 v13, s15
	s_waitcnt vmcnt(0)
	v_readfirstlane_b32 s18, v0
	v_readfirstlane_b32 s19, v1
	s_and_b64 s[18:19], s[18:19], s[14:15]
	s_mul_i32 s19, s19, 24
	s_mul_hi_u32 s20, s18, 24
	s_mul_i32 s18, s18, 24
	s_add_i32 s19, s20, s19
	v_mov_b32_e32 v0, s19
	v_add_co_u32_e32 v10, vcc, s18, v22
	v_addc_co_u32_e32 v11, vcc, v23, v0, vcc
	global_store_dwordx2 v[10:11], v[14:15], off
	buffer_wbl2
	s_waitcnt vmcnt(0)
	global_atomic_cmpswap_x2 v[2:3], v31, v[12:15], s[10:11] offset:32 glc
	s_waitcnt vmcnt(0)
	v_cmp_ne_u64_e32 vcc, v[2:3], v[14:15]
	s_and_saveexec_b64 s[18:19], vcc
	s_cbranch_execz .LBB3_350
; %bb.348:                              ;   in Loop: Header=BB3_282 Depth=1
	s_mov_b64 s[20:21], 0
.LBB3_349:                              ;   Parent Loop BB3_282 Depth=1
                                        ; =>  This Inner Loop Header: Depth=2
	s_sleep 1
	global_store_dwordx2 v[10:11], v[2:3], off
	v_mov_b32_e32 v0, s14
	v_mov_b32_e32 v1, s15
	buffer_wbl2
	s_waitcnt vmcnt(0)
	global_atomic_cmpswap_x2 v[0:1], v31, v[0:3], s[10:11] offset:32 glc
	s_waitcnt vmcnt(0)
	v_cmp_eq_u64_e32 vcc, v[0:1], v[2:3]
	s_or_b64 s[20:21], vcc, s[20:21]
	v_pk_mov_b32 v[2:3], v[0:1], v[0:1] op_sel:[0,1]
	s_andn2_b64 exec, exec, s[20:21]
	s_cbranch_execnz .LBB3_349
.LBB3_350:                              ;   in Loop: Header=BB3_282 Depth=1
	s_or_b64 exec, exec, s[18:19]
	global_load_dwordx2 v[0:1], v31, s[10:11] offset:16
	s_mov_b64 s[20:21], exec
	v_mbcnt_lo_u32_b32 v2, s20, 0
	v_mbcnt_hi_u32_b32 v2, s21, v2
	v_cmp_eq_u32_e32 vcc, 0, v2
	s_and_saveexec_b64 s[18:19], vcc
	s_cbranch_execz .LBB3_352
; %bb.351:                              ;   in Loop: Header=BB3_282 Depth=1
	s_bcnt1_i32_b64 s20, s[20:21]
	v_mov_b32_e32 v30, s20
	buffer_wbl2
	s_waitcnt vmcnt(0)
	global_atomic_add_x2 v[0:1], v[30:31], off offset:8
.LBB3_352:                              ;   in Loop: Header=BB3_282 Depth=1
	s_or_b64 exec, exec, s[18:19]
	s_waitcnt vmcnt(0)
	global_load_dwordx2 v[2:3], v[0:1], off offset:16
	s_waitcnt vmcnt(0)
	v_cmp_eq_u64_e32 vcc, 0, v[2:3]
	s_cbranch_vccnz .LBB3_354
; %bb.353:                              ;   in Loop: Header=BB3_282 Depth=1
	global_load_dword v30, v[0:1], off offset:24
	s_waitcnt vmcnt(0)
	v_and_b32_e32 v0, 0xffffff, v30
	v_readfirstlane_b32 m0, v0
	buffer_wbl2
	global_store_dwordx2 v[2:3], v[30:31], off
	s_sendmsg sendmsg(MSG_INTERRUPT)
.LBB3_354:                              ;   in Loop: Header=BB3_282 Depth=1
	s_or_b64 exec, exec, s[16:17]
	v_add_co_u32_e32 v0, vcc, v6, v36
	v_addc_co_u32_e32 v1, vcc, 0, v7, vcc
	s_branch .LBB3_358
.LBB3_355:                              ;   in Loop: Header=BB3_358 Depth=2
	s_or_b64 exec, exec, s[16:17]
	v_readfirstlane_b32 s16, v2
	s_cmp_eq_u32 s16, 0
	s_cbranch_scc1 .LBB3_357
; %bb.356:                              ;   in Loop: Header=BB3_358 Depth=2
	s_sleep 1
	s_cbranch_execnz .LBB3_358
	s_branch .LBB3_360
.LBB3_357:                              ;   in Loop: Header=BB3_282 Depth=1
	s_branch .LBB3_360
.LBB3_358:                              ;   Parent Loop BB3_282 Depth=1
                                        ; =>  This Inner Loop Header: Depth=2
	v_mov_b32_e32 v2, 1
	s_and_saveexec_b64 s[16:17], s[4:5]
	s_cbranch_execz .LBB3_355
; %bb.359:                              ;   in Loop: Header=BB3_358 Depth=2
	global_load_dword v2, v[34:35], off offset:20 glc
	s_waitcnt vmcnt(0)
	buffer_invl2
	buffer_wbinvl1_vol
	v_and_b32_e32 v2, 1, v2
	s_branch .LBB3_355
.LBB3_360:                              ;   in Loop: Header=BB3_282 Depth=1
	global_load_dwordx4 v[0:3], v[0:1], off
	s_and_saveexec_b64 s[16:17], s[4:5]
	s_cbranch_execz .LBB3_281
; %bb.361:                              ;   in Loop: Header=BB3_282 Depth=1
	global_load_dwordx2 v[2:3], v31, s[10:11] offset:40
	global_load_dwordx2 v[6:7], v31, s[10:11] offset:24 glc
	global_load_dwordx2 v[14:15], v31, s[10:11]
	v_mov_b32_e32 v11, s15
	s_waitcnt vmcnt(2)
	v_add_co_u32_e32 v13, vcc, 1, v2
	v_addc_co_u32_e32 v16, vcc, 0, v3, vcc
	v_add_co_u32_e32 v10, vcc, s14, v13
	v_addc_co_u32_e32 v11, vcc, v16, v11, vcc
	v_cmp_eq_u64_e32 vcc, 0, v[10:11]
	v_cndmask_b32_e32 v11, v11, v16, vcc
	v_cndmask_b32_e32 v10, v10, v13, vcc
	v_and_b32_e32 v3, v11, v3
	v_and_b32_e32 v2, v10, v2
	v_mul_lo_u32 v3, v3, 24
	v_mul_hi_u32 v13, v2, 24
	v_mul_lo_u32 v2, v2, 24
	v_add_u32_e32 v3, v13, v3
	s_waitcnt vmcnt(0)
	v_add_co_u32_e32 v2, vcc, v14, v2
	v_addc_co_u32_e32 v3, vcc, v15, v3, vcc
	v_mov_b32_e32 v12, v6
	global_store_dwordx2 v[2:3], v[6:7], off
	v_mov_b32_e32 v13, v7
	buffer_wbl2
	s_waitcnt vmcnt(0)
	global_atomic_cmpswap_x2 v[12:13], v31, v[10:13], s[10:11] offset:24 glc
	s_waitcnt vmcnt(0)
	v_cmp_ne_u64_e32 vcc, v[12:13], v[6:7]
	s_and_b64 exec, exec, vcc
	s_cbranch_execz .LBB3_281
; %bb.362:                              ;   in Loop: Header=BB3_282 Depth=1
	s_mov_b64 s[4:5], 0
.LBB3_363:                              ;   Parent Loop BB3_282 Depth=1
                                        ; =>  This Inner Loop Header: Depth=2
	s_sleep 1
	global_store_dwordx2 v[2:3], v[12:13], off
	buffer_wbl2
	s_waitcnt vmcnt(0)
	global_atomic_cmpswap_x2 v[6:7], v31, v[10:13], s[10:11] offset:24 glc
	s_waitcnt vmcnt(0)
	v_cmp_eq_u64_e32 vcc, v[6:7], v[12:13]
	s_or_b64 s[4:5], vcc, s[4:5]
	v_pk_mov_b32 v[12:13], v[6:7], v[6:7] op_sel:[0,1]
	s_andn2_b64 exec, exec, s[4:5]
	s_cbranch_execnz .LBB3_363
	s_branch .LBB3_281
.LBB3_364:
	s_or_b64 exec, exec, s[6:7]
                                        ; implicit-def: $vgpr36
                                        ; implicit-def: $vgpr37
.LBB3_365:
	s_andn2_saveexec_b64 s[6:7], s[12:13]
	s_cbranch_execz .LBB3_392
; %bb.366:
	v_readfirstlane_b32 s4, v37
	v_cmp_eq_u32_e64 s[4:5], s4, v37
	v_pk_mov_b32 v[8:9], 0, 0
	s_and_saveexec_b64 s[12:13], s[4:5]
	s_cbranch_execz .LBB3_372
; %bb.367:
	s_waitcnt vmcnt(0)
	v_mov_b32_e32 v2, 0
	global_load_dwordx2 v[6:7], v2, s[10:11] offset:24 glc
	s_waitcnt vmcnt(0)
	buffer_invl2
	buffer_wbinvl1_vol
	global_load_dwordx2 v[4:5], v2, s[10:11] offset:40
	global_load_dwordx2 v[8:9], v2, s[10:11]
	s_waitcnt vmcnt(1)
	v_and_b32_e32 v3, v4, v6
	v_and_b32_e32 v4, v5, v7
	v_mul_lo_u32 v4, v4, 24
	v_mul_hi_u32 v5, v3, 24
	v_mul_lo_u32 v3, v3, 24
	v_add_u32_e32 v5, v5, v4
	s_waitcnt vmcnt(0)
	v_add_co_u32_e32 v4, vcc, v8, v3
	v_addc_co_u32_e32 v5, vcc, v9, v5, vcc
	global_load_dwordx2 v[4:5], v[4:5], off glc
	s_waitcnt vmcnt(0)
	global_atomic_cmpswap_x2 v[8:9], v2, v[4:7], s[10:11] offset:24 glc
	s_waitcnt vmcnt(0)
	buffer_invl2
	buffer_wbinvl1_vol
	v_cmp_ne_u64_e32 vcc, v[8:9], v[6:7]
	s_and_saveexec_b64 s[14:15], vcc
	s_cbranch_execz .LBB3_371
; %bb.368:
	s_mov_b64 s[16:17], 0
.LBB3_369:                              ; =>This Inner Loop Header: Depth=1
	s_sleep 1
	global_load_dwordx2 v[4:5], v2, s[10:11] offset:40
	global_load_dwordx2 v[10:11], v2, s[10:11]
	v_pk_mov_b32 v[6:7], v[8:9], v[8:9] op_sel:[0,1]
	s_waitcnt vmcnt(1)
	v_and_b32_e32 v4, v4, v6
	v_and_b32_e32 v3, v5, v7
	s_waitcnt vmcnt(0)
	v_mad_u64_u32 v[4:5], s[18:19], v4, 24, v[10:11]
	v_mov_b32_e32 v8, v5
	v_mad_u64_u32 v[8:9], s[18:19], v3, 24, v[8:9]
	v_mov_b32_e32 v5, v8
	global_load_dwordx2 v[4:5], v[4:5], off glc
	s_waitcnt vmcnt(0)
	global_atomic_cmpswap_x2 v[8:9], v2, v[4:7], s[10:11] offset:24 glc
	s_waitcnt vmcnt(0)
	buffer_invl2
	buffer_wbinvl1_vol
	v_cmp_eq_u64_e32 vcc, v[8:9], v[6:7]
	s_or_b64 s[16:17], vcc, s[16:17]
	s_andn2_b64 exec, exec, s[16:17]
	s_cbranch_execnz .LBB3_369
; %bb.370:
	s_or_b64 exec, exec, s[16:17]
.LBB3_371:
	s_or_b64 exec, exec, s[14:15]
.LBB3_372:
	s_or_b64 exec, exec, s[12:13]
	s_waitcnt vmcnt(0)
	v_mov_b32_e32 v2, 0
	global_load_dwordx2 v[10:11], v2, s[10:11] offset:40
	global_load_dwordx4 v[4:7], v2, s[10:11]
	v_readfirstlane_b32 s12, v8
	v_readfirstlane_b32 s13, v9
	s_mov_b64 s[14:15], exec
	s_waitcnt vmcnt(1)
	v_readfirstlane_b32 s16, v10
	v_readfirstlane_b32 s17, v11
	s_and_b64 s[16:17], s[12:13], s[16:17]
	s_mul_i32 s18, s17, 24
	s_mul_hi_u32 s19, s16, 24
	s_mul_i32 s20, s16, 24
	s_add_i32 s18, s19, s18
	v_mov_b32_e32 v3, s18
	s_waitcnt vmcnt(0)
	v_add_co_u32_e32 v8, vcc, s20, v4
	v_addc_co_u32_e32 v9, vcc, v5, v3, vcc
	s_and_saveexec_b64 s[18:19], s[4:5]
	s_cbranch_execz .LBB3_374
; %bb.373:
	v_pk_mov_b32 v[10:11], s[14:15], s[14:15] op_sel:[0,1]
	v_mov_b32_e32 v12, 2
	v_mov_b32_e32 v13, 1
	global_store_dwordx4 v[8:9], v[10:13], off offset:8
.LBB3_374:
	s_or_b64 exec, exec, s[18:19]
	s_lshl_b64 s[14:15], s[16:17], 12
	v_mov_b32_e32 v3, s15
	v_add_co_u32_e32 v10, vcc, s14, v6
	v_addc_co_u32_e32 v11, vcc, v7, v3, vcc
	s_movk_i32 s14, 0xff1f
	s_mov_b32 s16, 0
	v_and_or_b32 v0, v0, s14, 32
	v_mov_b32_e32 v3, v2
	v_readfirstlane_b32 s14, v10
	v_readfirstlane_b32 s15, v11
	s_mov_b32 s17, s16
	v_add_co_u32_e32 v6, vcc, v10, v36
	s_mov_b32 s18, s16
	s_mov_b32 s19, s16
	s_nop 0
	global_store_dwordx4 v36, v[0:3], s[14:15]
	v_addc_co_u32_e32 v7, vcc, 0, v11, vcc
	v_pk_mov_b32 v[0:1], s[16:17], s[16:17] op_sel:[0,1]
	v_pk_mov_b32 v[2:3], s[18:19], s[18:19] op_sel:[0,1]
	global_store_dwordx4 v36, v[0:3], s[14:15] offset:16
	global_store_dwordx4 v36, v[0:3], s[14:15] offset:32
	;; [unrolled: 1-line block ×3, first 2 shown]
	s_and_saveexec_b64 s[14:15], s[4:5]
	s_cbranch_execz .LBB3_382
; %bb.375:
	v_mov_b32_e32 v10, 0
	global_load_dwordx2 v[14:15], v10, s[10:11] offset:32 glc
	global_load_dwordx2 v[0:1], v10, s[10:11] offset:40
	v_mov_b32_e32 v12, s12
	v_mov_b32_e32 v13, s13
	s_waitcnt vmcnt(0)
	v_readfirstlane_b32 s16, v0
	v_readfirstlane_b32 s17, v1
	s_and_b64 s[16:17], s[16:17], s[12:13]
	s_mul_i32 s17, s17, 24
	s_mul_hi_u32 s18, s16, 24
	s_mul_i32 s16, s16, 24
	s_add_i32 s17, s18, s17
	v_mov_b32_e32 v0, s17
	v_add_co_u32_e32 v4, vcc, s16, v4
	v_addc_co_u32_e32 v5, vcc, v5, v0, vcc
	global_store_dwordx2 v[4:5], v[14:15], off
	buffer_wbl2
	s_waitcnt vmcnt(0)
	global_atomic_cmpswap_x2 v[2:3], v10, v[12:15], s[10:11] offset:32 glc
	s_waitcnt vmcnt(0)
	v_cmp_ne_u64_e32 vcc, v[2:3], v[14:15]
	s_and_saveexec_b64 s[16:17], vcc
	s_cbranch_execz .LBB3_378
; %bb.376:
	s_mov_b64 s[18:19], 0
.LBB3_377:                              ; =>This Inner Loop Header: Depth=1
	s_sleep 1
	global_store_dwordx2 v[4:5], v[2:3], off
	v_mov_b32_e32 v0, s12
	v_mov_b32_e32 v1, s13
	buffer_wbl2
	s_waitcnt vmcnt(0)
	global_atomic_cmpswap_x2 v[0:1], v10, v[0:3], s[10:11] offset:32 glc
	s_waitcnt vmcnt(0)
	v_cmp_eq_u64_e32 vcc, v[0:1], v[2:3]
	s_or_b64 s[18:19], vcc, s[18:19]
	v_pk_mov_b32 v[2:3], v[0:1], v[0:1] op_sel:[0,1]
	s_andn2_b64 exec, exec, s[18:19]
	s_cbranch_execnz .LBB3_377
.LBB3_378:
	s_or_b64 exec, exec, s[16:17]
	v_mov_b32_e32 v3, 0
	global_load_dwordx2 v[0:1], v3, s[10:11] offset:16
	s_mov_b64 s[16:17], exec
	v_mbcnt_lo_u32_b32 v2, s16, 0
	v_mbcnt_hi_u32_b32 v2, s17, v2
	v_cmp_eq_u32_e32 vcc, 0, v2
	s_and_saveexec_b64 s[18:19], vcc
	s_cbranch_execz .LBB3_380
; %bb.379:
	s_bcnt1_i32_b64 s16, s[16:17]
	v_mov_b32_e32 v2, s16
	buffer_wbl2
	s_waitcnt vmcnt(0)
	global_atomic_add_x2 v[0:1], v[2:3], off offset:8
.LBB3_380:
	s_or_b64 exec, exec, s[18:19]
	s_waitcnt vmcnt(0)
	global_load_dwordx2 v[2:3], v[0:1], off offset:16
	s_waitcnt vmcnt(0)
	v_cmp_eq_u64_e32 vcc, 0, v[2:3]
	s_cbranch_vccnz .LBB3_382
; %bb.381:
	global_load_dword v0, v[0:1], off offset:24
	v_mov_b32_e32 v1, 0
	buffer_wbl2
	s_waitcnt vmcnt(0)
	global_store_dwordx2 v[2:3], v[0:1], off
	v_and_b32_e32 v0, 0xffffff, v0
	v_readfirstlane_b32 m0, v0
	s_sendmsg sendmsg(MSG_INTERRUPT)
.LBB3_382:
	s_or_b64 exec, exec, s[14:15]
	s_branch .LBB3_386
.LBB3_383:                              ;   in Loop: Header=BB3_386 Depth=1
	s_or_b64 exec, exec, s[14:15]
	v_readfirstlane_b32 s14, v0
	s_cmp_eq_u32 s14, 0
	s_cbranch_scc1 .LBB3_385
; %bb.384:                              ;   in Loop: Header=BB3_386 Depth=1
	s_sleep 1
	s_cbranch_execnz .LBB3_386
	s_branch .LBB3_388
.LBB3_385:
	s_branch .LBB3_388
.LBB3_386:                              ; =>This Inner Loop Header: Depth=1
	v_mov_b32_e32 v0, 1
	s_and_saveexec_b64 s[14:15], s[4:5]
	s_cbranch_execz .LBB3_383
; %bb.387:                              ;   in Loop: Header=BB3_386 Depth=1
	global_load_dword v0, v[8:9], off offset:20 glc
	s_waitcnt vmcnt(0)
	buffer_invl2
	buffer_wbinvl1_vol
	v_and_b32_e32 v0, 1, v0
	s_branch .LBB3_383
.LBB3_388:
	global_load_dwordx2 v[0:1], v[6:7], off
	s_and_saveexec_b64 s[14:15], s[4:5]
	s_cbranch_execz .LBB3_391
; %bb.389:
	v_mov_b32_e32 v8, 0
	global_load_dwordx2 v[6:7], v8, s[10:11] offset:40
	global_load_dwordx2 v[10:11], v8, s[10:11] offset:24 glc
	global_load_dwordx2 v[12:13], v8, s[10:11]
	v_mov_b32_e32 v3, s13
	s_mov_b64 s[4:5], 0
	s_waitcnt vmcnt(2)
	v_add_co_u32_e32 v5, vcc, 1, v6
	v_addc_co_u32_e32 v9, vcc, 0, v7, vcc
	v_add_co_u32_e32 v2, vcc, s12, v5
	v_addc_co_u32_e32 v3, vcc, v9, v3, vcc
	v_cmp_eq_u64_e32 vcc, 0, v[2:3]
	v_cndmask_b32_e32 v3, v3, v9, vcc
	v_cndmask_b32_e32 v2, v2, v5, vcc
	v_and_b32_e32 v5, v3, v7
	v_and_b32_e32 v6, v2, v6
	v_mul_lo_u32 v5, v5, 24
	v_mul_hi_u32 v7, v6, 24
	v_mul_lo_u32 v6, v6, 24
	v_add_u32_e32 v5, v7, v5
	s_waitcnt vmcnt(0)
	v_add_co_u32_e32 v6, vcc, v12, v6
	v_addc_co_u32_e32 v7, vcc, v13, v5, vcc
	v_mov_b32_e32 v4, v10
	global_store_dwordx2 v[6:7], v[10:11], off
	v_mov_b32_e32 v5, v11
	buffer_wbl2
	s_waitcnt vmcnt(0)
	global_atomic_cmpswap_x2 v[4:5], v8, v[2:5], s[10:11] offset:24 glc
	s_waitcnt vmcnt(0)
	v_cmp_ne_u64_e32 vcc, v[4:5], v[10:11]
	s_and_b64 exec, exec, vcc
	s_cbranch_execz .LBB3_391
.LBB3_390:                              ; =>This Inner Loop Header: Depth=1
	s_sleep 1
	global_store_dwordx2 v[6:7], v[4:5], off
	buffer_wbl2
	s_waitcnt vmcnt(0)
	global_atomic_cmpswap_x2 v[10:11], v8, v[2:5], s[10:11] offset:24 glc
	s_waitcnt vmcnt(0)
	v_cmp_eq_u64_e32 vcc, v[10:11], v[4:5]
	s_or_b64 s[4:5], vcc, s[4:5]
	v_pk_mov_b32 v[4:5], v[10:11], v[10:11] op_sel:[0,1]
	s_andn2_b64 exec, exec, s[4:5]
	s_cbranch_execnz .LBB3_390
.LBB3_391:
	s_or_b64 exec, exec, s[14:15]
.LBB3_392:
	s_or_b64 exec, exec, s[6:7]
	s_getpc_b64 s[4:5]
	s_add_u32 s4, s4, .str.2@rel32@lo+4
	s_addc_u32 s5, s5, .str.2@rel32@hi+12
	s_getpc_b64 s[6:7]
	s_add_u32 s6, s6, .str.2@rel32@lo+32
	s_addc_u32 s7, s7, .str.2@rel32@hi+40
	s_sub_i32 s10, s6, s4
	s_ashr_i32 s11, s10, 31
	s_waitcnt vmcnt(0)
	v_mov_b32_e32 v2, s4
	v_mov_b32_e32 v3, s5
	;; [unrolled: 1-line block ×5, first 2 shown]
	s_getpc_b64 s[6:7]
	s_add_u32 s6, s6, __ockl_fprintf_append_string_n@rel32@lo+4
	s_addc_u32 s7, s7, __ockl_fprintf_append_string_n@rel32@hi+12
	s_swappc_b64 s[30:31], s[6:7]
	s_trap 2
.Lfunc_end3:
	.size	__assert_fail, .Lfunc_end3-__assert_fail
                                        ; -- End function
	.section	.AMDGPU.csdata,"",@progbits
; Function info:
; codeLenInByte = 15360
; NumSgprs: 38
; NumVgprs: 41
; NumAgprs: 0
; TotalNumVgprs: 41
; ScratchSize: 64
; MemoryBound: 0
	.text
	.p2align	2                               ; -- Begin function _ZN12_GLOBAL__N_17runRingIa7FuncSumIaE11ProtoSimpleILi1ELi1ELi0ELi1ELi0ELi0EELi0ELi1ELi0EEEviiP15ncclDevWorkColl
	.type	_ZN12_GLOBAL__N_17runRingIa7FuncSumIaE11ProtoSimpleILi1ELi1ELi0ELi1ELi0ELi0EELi0ELi1ELi0EEEviiP15ncclDevWorkColl,@function
_ZN12_GLOBAL__N_17runRingIa7FuncSumIaE11ProtoSimpleILi1ELi1ELi0ELi1ELi0ELi0EELi0ELi1ELi0EEEviiP15ncclDevWorkColl: ; @_ZN12_GLOBAL__N_17runRingIa7FuncSumIaE11ProtoSimpleILi1ELi1ELi0ELi1ELi0ELi0EELi0ELi1ELi0EEEviiP15ncclDevWorkColl
; %bb.0:
	s_waitcnt vmcnt(0) expcnt(0) lgkmcnt(0)
	s_mov_b32 s4, s33
	s_mov_b32 s33, s32
	s_or_saveexec_b64 s[6:7], -1
	buffer_store_dword v63, off, s[0:3], s33 ; 4-byte Folded Spill
	s_mov_b64 exec, s[6:7]
	v_writelane_b32 v63, s4, 53
	v_accvgpr_write_b32 a14, v40            ;  Reload Reuse
	s_addk_i32 s32, 0x400
	v_accvgpr_write_b32 a15, v41            ;  Reload Reuse
	v_accvgpr_write_b32 a16, v42            ;  Reload Reuse
	;; [unrolled: 1-line block ×14, first 2 shown]
	v_writelane_b32 v63, s34, 0
	v_writelane_b32 v63, s35, 1
	v_writelane_b32 v63, s36, 2
	v_writelane_b32 v63, s37, 3
	v_writelane_b32 v63, s38, 4
	v_writelane_b32 v63, s39, 5
	v_writelane_b32 v63, s40, 6
	v_writelane_b32 v63, s41, 7
	v_writelane_b32 v63, s42, 8
	v_writelane_b32 v63, s43, 9
	v_writelane_b32 v63, s44, 10
	v_writelane_b32 v63, s45, 11
	v_writelane_b32 v63, s46, 12
	v_writelane_b32 v63, s47, 13
	v_writelane_b32 v63, s48, 14
	v_writelane_b32 v63, s49, 15
	v_writelane_b32 v63, s50, 16
	v_writelane_b32 v63, s51, 17
	v_writelane_b32 v63, s52, 18
	v_writelane_b32 v63, s53, 19
	v_writelane_b32 v63, s54, 20
	v_writelane_b32 v63, s55, 21
	v_writelane_b32 v63, s56, 22
	v_writelane_b32 v63, s57, 23
	v_writelane_b32 v63, s58, 24
	v_writelane_b32 v63, s59, 25
	v_writelane_b32 v63, s60, 26
	v_writelane_b32 v63, s61, 27
	v_writelane_b32 v63, s62, 28
	v_writelane_b32 v63, s63, 29
	v_writelane_b32 v63, s64, 30
	v_writelane_b32 v63, s65, 31
	v_writelane_b32 v63, s66, 32
	v_writelane_b32 v63, s67, 33
	v_writelane_b32 v63, s68, 34
	v_writelane_b32 v63, s69, 35
	v_writelane_b32 v63, s70, 36
	v_writelane_b32 v63, s71, 37
	v_writelane_b32 v63, s72, 38
	v_writelane_b32 v63, s73, 39
	v_writelane_b32 v63, s74, 40
	v_writelane_b32 v63, s75, 41
	v_writelane_b32 v63, s76, 42
	v_writelane_b32 v63, s77, 43
	v_writelane_b32 v63, s78, 44
	v_writelane_b32 v63, s79, 45
	v_writelane_b32 v63, s80, 46
	v_writelane_b32 v63, s81, 47
	v_writelane_b32 v63, s82, 48
	v_writelane_b32 v63, s83, 49
	v_writelane_b32 v63, s84, 50
	v_writelane_b32 v63, s30, 51
	v_writelane_b32 v63, s31, 52
	s_trap 2
	ds_read_b64 v[4:5], v0
	flat_load_ushort v9, v[2:3] offset:8
	flat_load_dwordx2 v[18:19], v[2:3]
	ds_read_b32 v6, v0
                                        ; implicit-def: $vgpr36_vgpr37
                                        ; implicit-def: $vgpr16_vgpr17
	s_waitcnt lgkmcnt(0)
	flat_load_dwordx2 v[14:15], v[4:5]
                                        ; implicit-def: $vgpr4_vgpr5
	s_waitcnt vmcnt(0)
	v_mov_b32_e32 v8, v19
	v_cmp_ne_u32_sdwa s[4:5], v18, v6 src0_sel:BYTE_0 src1_sel:DWORD
	s_and_saveexec_b64 s[6:7], s[4:5]
	s_xor_b64 s[4:5], exec, s[6:7]
	s_cbranch_execz .LBB4_6
; %bb.1:
	v_not_b32_sdwa v10, v18 dst_sel:DWORD dst_unused:UNUSED_PAD src0_sel:BYTE_0
	v_cmp_ne_u32_sdwa s[6:7], v18, v6 src0_sel:BYTE_1 src1_sel:DWORD
                                        ; implicit-def: $vgpr36_vgpr37
                                        ; implicit-def: $vgpr4_vgpr5
                                        ; implicit-def: $vgpr16_vgpr17
	s_and_saveexec_b64 s[10:11], s[6:7]
	s_xor_b64 s[6:7], exec, s[10:11]
	s_cbranch_execz .LBB4_3
; %bb.2:
	flat_load_dwordx4 v[20:23], v[2:3] offset:72
	flat_load_dwordx2 v[4:5], v[2:3] offset:96
	v_add_u32_e32 v6, v6, v10
	v_ashrrev_i32_e32 v7, 31, v6
                                        ; implicit-def: $vgpr10
	s_waitcnt vmcnt(0) lgkmcnt(0)
	v_mul_lo_u32 v7, v22, v7
	v_mad_u64_u32 v[16:17], s[10:11], v22, v6, v[20:21]
	v_mul_lo_u32 v6, v23, v6
	v_lshrrev_b64 v[36:37], 21, v[4:5]
	v_add3_u32 v17, v6, v17, v7
	v_pk_mov_b32 v[4:5], v[22:23], v[22:23] op_sel:[0,1]
.LBB4_3:
	s_andn2_saveexec_b64 s[6:7], s[6:7]
	s_cbranch_execz .LBB4_5
; %bb.4:
	flat_load_dwordx4 v[20:23], v[2:3] offset:72
	flat_load_dwordx4 v[4:7], v[2:3] offset:88
	s_waitcnt vmcnt(0) lgkmcnt(0)
	v_add_u32_sdwa v6, v18, v10 dst_sel:DWORD dst_unused:UNUSED_PAD src0_sel:BYTE_1 src1_sel:DWORD
	v_ashrrev_i32_e32 v10, 31, v6
	v_mul_lo_u32 v10, v22, v10
	v_mad_u64_u32 v[16:17], s[10:11], v22, v6, v[20:21]
	v_mul_lo_u32 v6, v23, v6
	v_add3_u32 v17, v6, v17, v10
	v_lshrrev_b32_e32 v36, 10, v7
.LBB4_5:
	s_or_b64 exec, exec, s[6:7]
.LBB4_6:
	s_andn2_saveexec_b64 s[4:5], s[4:5]
	s_cbranch_execz .LBB4_8
; %bb.7:
	flat_load_dwordx2 v[4:5], v[2:3] offset:72
	flat_load_dwordx2 v[36:37], v[2:3] offset:96
	v_pk_mov_b32 v[16:17], 0, 0
.LBB4_8:
	s_or_b64 exec, exec, s[4:5]
	flat_load_dwordx4 v[10:13], v[2:3] offset:16
	s_brev_b32 s4, 34
	v_and_b32_e32 v6, 0x44000000, v18
	v_cmp_eq_u32_e64 s[20:21], s4, v6
	v_cndmask_b32_e64 v21, v1, 64, s[20:21]
	v_bfe_u32 v19, v8, 1, 30
	v_cmp_ge_i32_e32 vcc, v0, v21
	s_and_saveexec_b64 s[4:5], vcc
	s_xor_b64 s[6:7], exec, s[4:5]
	s_cbranch_execz .LBB4_44
; %bb.9:
	s_waitcnt vmcnt(0) lgkmcnt(0)
	v_cmp_ne_u64_e32 vcc, v[12:13], v[10:11]
	v_cmp_eq_u32_e64 s[4:5], v14, v19
	s_and_b64 s[10:11], vcc, s[4:5]
	s_and_saveexec_b64 s[4:5], s[10:11]
	s_cbranch_execz .LBB4_43
; %bb.10:
	v_sub_u32_e32 v23, v0, v21
	v_ashrrev_i32_e32 v0, 31, v23
	v_lshrrev_b32_e32 v0, 26, v0
	v_add_u32_e32 v0, v23, v0
	v_and_b32_e32 v2, 0xffffffc0, v0
	v_sub_u32_e32 v20, v23, v2
	v_cmp_gt_i32_e32 vcc, 1, v20
	v_mov_b32_e32 v2, 0
	s_and_saveexec_b64 s[10:11], vcc
; %bb.11:
	v_add_u32_e32 v2, v12, v16
	v_add_u32_e32 v3, v10, v16
	v_or_b32_e32 v2, v2, v3
	v_and_b32_e32 v2, 15, v2
	v_cmp_ne_u32_e32 vcc, 0, v2
	v_cndmask_b32_e64 v2, 0, 1, vcc
; %bb.12:
	s_or_b64 exec, exec, s[10:11]
	v_ashrrev_i32_e32 v24, 6, v0
	v_sub_u32_e32 v22, v1, v21
	;;#ASMSTART
	;;#ASMEND
	v_cmp_ne_u32_e32 vcc, 0, v2
	s_cbranch_vccz .LBB4_14
; %bb.13:
	s_mov_b64 s[14:15], -1
	v_pk_mov_b32 v[2:3], 0, 0
	s_and_b64 exec, exec, s[14:15]
	s_cbranch_execnz .LBB4_35
	s_branch .LBB4_43
.LBB4_14:
	v_ashrrev_i32_e32 v0, 31, v5
	v_lshrrev_b32_e32 v0, 22, v0
	v_add_co_u32_e32 v0, vcc, v4, v0
	v_addc_co_u32_e32 v1, vcc, 0, v5, vcc
	v_ashrrev_i64 v[8:9], 10, v[0:1]
	v_and_b32_e32 v0, 0xfffffc00, v0
	v_sub_co_u32_e32 v6, vcc, v4, v0
	v_subb_co_u32_e32 v7, vcc, v5, v1, vcc
	v_mov_b32_e32 v3, 0
	v_cmp_lt_i64_e32 vcc, 15, v[6:7]
	s_and_saveexec_b64 s[10:11], vcc
; %bb.15:
	v_add_co_u32_e32 v8, vcc, 1, v8
	v_addc_co_u32_e32 v9, vcc, 0, v9, vcc
	v_and_b32_e32 v2, 15, v4
	v_sub_co_u32_e32 v0, vcc, v0, v2
	v_subbrev_co_u32_e32 v1, vcc, 0, v1, vcc
	v_add_co_u32_e32 v0, vcc, v0, v6
	v_addc_co_u32_e32 v1, vcc, v1, v7, vcc
	v_pk_mov_b32 v[6:7], v[2:3], v[2:3] op_sel:[0,1]
; %bb.16:
	s_or_b64 exec, exec, s[10:11]
	v_lshlrev_b32_e32 v18, 4, v23
	v_ashrrev_i32_e32 v19, 31, v18
	v_sub_co_u32_e32 v2, vcc, v4, v18
	v_subb_co_u32_e32 v3, vcc, v5, v19, vcc
	v_ashrrev_i32_e32 v4, 31, v24
	v_sub_co_u32_e32 v14, vcc, v8, v24
	v_subb_co_u32_e32 v15, vcc, v9, v4, vcc
	v_cmp_lt_i64_e32 vcc, 15, v[2:3]
	s_and_saveexec_b64 s[10:11], vcc
	s_cbranch_execz .LBB4_20
; %bb.17:
	v_ashrrev_i32_e32 v4, 31, v22
	v_lshrrev_b32_e32 v4, 26, v4
	v_add_u32_e32 v4, v22, v4
	v_ashrrev_i32_e32 v4, 6, v4
	v_lshlrev_b32_e32 v8, 10, v4
	v_add_u32_e32 v5, 0xfffffc00, v8
	v_ashrrev_i32_e32 v9, 31, v5
	v_add_co_u32_e32 v21, vcc, 0x400, v5
	v_addc_co_u32_e32 v23, vcc, 0, v9, vcc
	v_add_co_u32_e32 v18, vcc, v16, v18
	v_ashrrev_i32_e32 v5, 31, v8
	v_ashrrev_i32_e32 v9, 31, v4
	v_addc_co_u32_e32 v19, vcc, v17, v19, vcc
	s_mov_b64 s[14:15], 0
.LBB4_18:                               ; =>This Inner Loop Header: Depth=1
	v_add_co_u32_e32 v24, vcc, v12, v18
	v_addc_co_u32_e32 v25, vcc, v13, v19, vcc
	global_load_dwordx4 v[24:27], v[24:25], off glc slc
	v_add_co_u32_e32 v28, vcc, v10, v18
	v_addc_co_u32_e32 v29, vcc, v11, v19, vcc
	v_sub_co_u32_e32 v2, vcc, v2, v8
	v_subb_co_u32_e32 v3, vcc, v3, v5, vcc
	v_sub_co_u32_e32 v14, vcc, v14, v4
	v_subb_co_u32_e32 v15, vcc, v15, v9, vcc
	v_add_co_u32_e32 v18, vcc, v18, v21
	v_addc_co_u32_e32 v19, vcc, v19, v23, vcc
	v_cmp_gt_i64_e32 vcc, 16, v[2:3]
	s_or_b64 s[14:15], vcc, s[14:15]
	s_waitcnt vmcnt(0)
	global_store_dwordx4 v[28:29], v[24:27], off glc slc
	s_andn2_b64 exec, exec, s[14:15]
	s_cbranch_execnz .LBB4_18
; %bb.19:
	s_or_b64 exec, exec, s[14:15]
.LBB4_20:
	s_or_b64 exec, exec, s[10:11]
	s_mov_b64 s[14:15], 0
	v_cmp_lt_i64_e32 vcc, 0, v[14:15]
	s_and_saveexec_b64 s[10:11], vcc
; %bb.21:
	v_ashrrev_i32_e32 v2, 31, v22
	v_lshrrev_b32_e32 v2, 26, v2
	v_add_u32_e32 v2, v22, v2
	v_ashrrev_i32_e32 v2, 6, v2
	v_sub_co_u32_e32 v14, vcc, v14, v2
; %bb.22:
	s_or_b64 exec, exec, s[10:11]
	v_cmp_ne_u64_e32 vcc, 0, v[6:7]
	v_pk_mov_b32 v[2:3], 0, 0
                                        ; implicit-def: $vgpr4_vgpr5
                                        ; implicit-def: $vgpr23
                                        ; implicit-def: $vgpr24
	s_and_saveexec_b64 s[10:11], vcc
	s_cbranch_execz .LBB4_34
; %bb.23:
	v_ashrrev_i32_e32 v2, 31, v7
	v_lshrrev_b32_e32 v2, 22, v2
	v_add_co_u32_e32 v4, vcc, v6, v2
	v_addc_co_u32_e32 v5, vcc, 0, v7, vcc
	v_and_b32_e32 v2, 0xfffffc00, v4
	v_add_co_u32_e32 v8, vcc, v2, v0
	v_addc_co_u32_e32 v9, vcc, v5, v1, vcc
	v_ashrrev_i64 v[18:19], 10, v[4:5]
	v_sub_co_u32_e32 v4, vcc, v6, v2
	v_subb_co_u32_e32 v5, vcc, v7, v5, vcc
	v_mov_b32_e32 v3, 0
	v_cmp_lt_i64_e32 vcc, 15, v[4:5]
	s_and_saveexec_b64 s[14:15], vcc
; %bb.24:
	v_add_co_u32_e32 v18, vcc, 1, v18
	v_addc_co_u32_e32 v19, vcc, 0, v19, vcc
	v_and_b32_e32 v2, 15, v6
	v_sub_co_u32_e32 v4, vcc, v4, v2
	v_subbrev_co_u32_e32 v5, vcc, 0, v5, vcc
	v_add_co_u32_e32 v8, vcc, v4, v8
	v_addc_co_u32_e32 v9, vcc, v5, v9, vcc
	v_pk_mov_b32 v[4:5], v[2:3], v[2:3] op_sel:[0,1]
; %bb.25:
	s_or_b64 exec, exec, s[14:15]
	v_lshlrev_b32_e32 v2, 6, v14
	v_sub_u32_e32 v2, v20, v2
	v_ashrrev_i32_e32 v3, 31, v2
	v_lshrrev_b32_e32 v3, 26, v3
	v_add_u32_e32 v3, v2, v3
	v_ashrrev_i32_e32 v14, 6, v3
	v_and_b32_e32 v3, 0xffffffc0, v3
	v_sub_u32_e32 v25, v2, v3
	v_lshlrev_b32_e32 v2, 4, v25
	v_lshl_add_u32 v20, v14, 10, v2
	v_ashrrev_i32_e32 v21, 31, v20
	v_sub_co_u32_e32 v2, vcc, v6, v20
	v_subb_co_u32_e32 v3, vcc, v7, v21, vcc
	v_ashrrev_i32_e32 v7, 31, v14
	v_sub_co_u32_e32 v6, vcc, v18, v14
	v_subb_co_u32_e32 v7, vcc, v19, v7, vcc
	v_cmp_lt_i64_e32 vcc, 15, v[2:3]
	s_and_saveexec_b64 s[14:15], vcc
	s_cbranch_execz .LBB4_29
; %bb.26:
	v_ashrrev_i32_e32 v14, 31, v22
	v_lshrrev_b32_e32 v14, 26, v14
	v_add_u32_e32 v14, v22, v14
	v_ashrrev_i32_e32 v14, 6, v14
	v_lshlrev_b32_e32 v18, 10, v14
	v_add_u32_e32 v15, 0xfffffc00, v18
	v_ashrrev_i32_e32 v19, 31, v15
	v_add_co_u32_e32 v23, vcc, 0x400, v15
	v_addc_co_u32_e32 v24, vcc, 0, v19, vcc
	v_add_co_u32_e32 v0, vcc, v16, v0
	v_addc_co_u32_e32 v1, vcc, v17, v1, vcc
	v_add_co_u32_e32 v0, vcc, v0, v20
	v_ashrrev_i32_e32 v15, 31, v18
	v_ashrrev_i32_e32 v19, 31, v14
	v_addc_co_u32_e32 v1, vcc, v1, v21, vcc
	s_mov_b64 s[16:17], 0
.LBB4_27:                               ; =>This Inner Loop Header: Depth=1
	v_add_co_u32_e32 v20, vcc, v12, v0
	v_addc_co_u32_e32 v21, vcc, v13, v1, vcc
	global_load_dwordx4 v[26:29], v[20:21], off glc slc
	v_add_co_u32_e32 v20, vcc, v10, v0
	v_addc_co_u32_e32 v21, vcc, v11, v1, vcc
	v_sub_co_u32_e32 v2, vcc, v2, v18
	v_subb_co_u32_e32 v3, vcc, v3, v15, vcc
	v_sub_co_u32_e32 v6, vcc, v6, v14
	v_subb_co_u32_e32 v7, vcc, v7, v19, vcc
	v_add_co_u32_e32 v0, vcc, v0, v23
	v_addc_co_u32_e32 v1, vcc, v1, v24, vcc
	v_cmp_gt_i64_e32 vcc, 16, v[2:3]
	s_or_b64 s[16:17], vcc, s[16:17]
	s_waitcnt vmcnt(0)
	global_store_dwordx4 v[20:21], v[26:29], off glc slc
	s_andn2_b64 exec, exec, s[16:17]
	s_cbranch_execnz .LBB4_27
; %bb.28:
	s_or_b64 exec, exec, s[16:17]
.LBB4_29:
	s_or_b64 exec, exec, s[14:15]
	s_mov_b64 s[14:15], 0
	v_cmp_lt_i64_e32 vcc, 0, v[6:7]
	s_and_saveexec_b64 s[16:17], vcc
; %bb.30:
	v_ashrrev_i32_e32 v0, 31, v22
	v_lshrrev_b32_e32 v0, 26, v0
	v_add_u32_e32 v0, v22, v0
	v_ashrrev_i32_e32 v0, 6, v0
	v_sub_co_u32_e32 v6, vcc, v6, v0
; %bb.31:
	s_or_b64 exec, exec, s[16:17]
	v_cmp_ne_u64_e32 vcc, 0, v[4:5]
	v_pk_mov_b32 v[2:3], 0, 0
                                        ; implicit-def: $vgpr23
                                        ; implicit-def: $vgpr24
	s_and_saveexec_b64 s[16:17], vcc
; %bb.32:
	v_lshlrev_b32_e32 v0, 6, v6
	v_sub_u32_e32 v23, v25, v0
	v_ashrrev_i32_e32 v0, 31, v23
	v_lshrrev_b32_e32 v0, 26, v0
	v_add_u32_e32 v0, v23, v0
	s_mov_b64 s[14:15], exec
	v_ashrrev_i32_e32 v24, 6, v0
	v_pk_mov_b32 v[2:3], v[8:9], v[8:9] op_sel:[0,1]
; %bb.33:
	s_or_b64 exec, exec, s[16:17]
	s_and_b64 s[14:15], s[14:15], exec
.LBB4_34:
	s_or_b64 exec, exec, s[10:11]
	s_and_b64 exec, exec, s[14:15]
	s_cbranch_execz .LBB4_43
.LBB4_35:
	v_ashrrev_i32_e32 v0, 31, v5
	v_lshrrev_b32_e32 v0, 23, v0
	v_add_co_u32_e32 v0, vcc, v4, v0
	v_addc_co_u32_e32 v1, vcc, 0, v5, vcc
	v_ashrrev_i64 v[6:7], 9, v[0:1]
	v_ashrrev_i32_e32 v1, 31, v24
	v_sub_co_u32_e32 v0, vcc, v6, v24
	v_subb_co_u32_e32 v1, vcc, v7, v1, vcc
	s_mov_b64 s[14:15], 0
	v_cmp_lt_i64_e32 vcc, 0, v[0:1]
	s_and_saveexec_b64 s[10:11], vcc
	s_cbranch_execz .LBB4_39
; %bb.36:
	v_ashrrev_i32_e32 v14, 31, v22
	v_lshrrev_b32_e32 v14, 26, v14
	v_add_u32_e32 v14, v22, v14
	v_ashrrev_i32_e32 v14, 6, v14
	v_mov_b32_e32 v15, 0xfffffe00
	v_lshl_add_u32 v18, v14, 9, v15
	s_movk_i32 s13, 0x200
	v_ashrrev_i32_e32 v19, 31, v18
	v_add_co_u32_e32 v25, vcc, s13, v18
	v_ashrrev_i32_e32 v8, 31, v23
	v_addc_co_u32_e32 v26, vcc, 0, v19, vcc
	v_lshrrev_b32_e32 v8, 26, v8
	v_add_co_u32_e32 v20, vcc, v16, v2
	v_add_u32_e32 v8, v23, v8
	v_addc_co_u32_e32 v21, vcc, v17, v3, vcc
	v_and_b32_e32 v8, 0xffffffc0, v8
	v_add_co_u32_e32 v18, vcc, v20, v12
	v_sub_u32_e32 v8, v23, v8
	v_addc_co_u32_e32 v19, vcc, v21, v13, vcc
	v_lshl_add_u32 v8, v24, 9, v8
	v_add_co_u32_e32 v20, vcc, v20, v10
	v_ashrrev_i32_e32 v9, 31, v8
	v_ashrrev_i32_e32 v15, 31, v14
	v_addc_co_u32_e32 v21, vcc, v21, v11, vcc
.LBB4_37:                               ; =>This Inner Loop Header: Depth=1
	v_add_co_u32_e32 v28, vcc, v8, v18
	v_addc_co_u32_e32 v29, vcc, v9, v19, vcc
	flat_load_ubyte v27, v[28:29] glc slc
	flat_load_ubyte v30, v[28:29] offset:64 glc slc
	flat_load_ubyte v31, v[28:29] offset:128 glc slc
	;; [unrolled: 1-line block ×7, first 2 shown]
	v_add_co_u32_e32 v28, vcc, v8, v20
	v_addc_co_u32_e32 v29, vcc, v9, v21, vcc
	v_sub_co_u32_e32 v0, vcc, v0, v14
	v_subb_co_u32_e32 v1, vcc, v1, v15, vcc
	v_add_co_u32_e32 v18, vcc, v18, v25
	v_addc_co_u32_e32 v19, vcc, v19, v26, vcc
	v_add_co_u32_e32 v20, vcc, v20, v25
	v_addc_co_u32_e32 v21, vcc, v21, v26, vcc
	v_cmp_gt_i64_e32 vcc, 1, v[0:1]
	s_or_b64 s[14:15], vcc, s[14:15]
	s_waitcnt vmcnt(0) lgkmcnt(0)
	flat_store_byte v[28:29], v27 glc slc
	flat_store_byte v[28:29], v30 offset:64 glc slc
	flat_store_byte v[28:29], v31 offset:128 glc slc
	;; [unrolled: 1-line block ×7, first 2 shown]
	s_andn2_b64 exec, exec, s[14:15]
	s_cbranch_execnz .LBB4_37
; %bb.38:
	s_or_b64 exec, exec, s[14:15]
.LBB4_39:
	s_or_b64 exec, exec, s[10:11]
	v_lshlrev_b64 v[6:7], 9, v[6:7]
	v_cmp_ne_u64_e32 vcc, v[4:5], v[6:7]
	s_and_b64 exec, exec, vcc
	s_cbranch_execz .LBB4_43
; %bb.40:
	v_lshlrev_b32_e32 v1, 6, v24
	v_sub_u32_e32 v1, v23, v1
	v_lshlrev_b32_e32 v0, 6, v0
	v_sub_u32_e32 v8, v1, v0
	v_ashrrev_i32_e32 v9, 31, v8
	v_add_co_u32_e32 v0, vcc, v6, v8
	v_addc_co_u32_e32 v1, vcc, v7, v9, vcc
	v_sub_co_u32_e32 v0, vcc, v4, v0
	v_subb_co_u32_e32 v1, vcc, v5, v1, vcc
	s_mov_b64 s[10:11], 0
	v_cmp_lt_i64_e32 vcc, 0, v[0:1]
	s_and_b64 exec, exec, vcc
	s_cbranch_execz .LBB4_43
; %bb.41:
	v_ashrrev_i32_e32 v4, 31, v22
	v_lshrrev_b32_e32 v4, 26, v4
	v_add_u32_e32 v4, v22, v4
	v_and_b32_e32 v4, 0xffffffc0, v4
	v_subrev_u32_e32 v5, 64, v4
	v_ashrrev_i32_e32 v15, 31, v5
	v_add_co_u32_e32 v14, vcc, 64, v5
	v_addc_co_u32_e32 v15, vcc, 0, v15, vcc
	v_add_co_u32_e32 v2, vcc, v16, v2
	v_addc_co_u32_e32 v3, vcc, v17, v3, vcc
	;; [unrolled: 2-line block ×3, first 2 shown]
	v_add_co_u32_e32 v2, vcc, v2, v8
	v_ashrrev_i32_e32 v5, 31, v4
	v_addc_co_u32_e32 v3, vcc, v3, v9, vcc
.LBB4_42:                               ; =>This Inner Loop Header: Depth=1
	v_add_co_u32_e32 v6, vcc, v12, v2
	v_addc_co_u32_e32 v7, vcc, v13, v3, vcc
	flat_load_ubyte v8, v[6:7] glc slc
	v_add_co_u32_e32 v6, vcc, v10, v2
	v_addc_co_u32_e32 v7, vcc, v11, v3, vcc
	v_sub_co_u32_e32 v0, vcc, v0, v4
	v_subb_co_u32_e32 v1, vcc, v1, v5, vcc
	v_add_co_u32_e32 v2, vcc, v2, v14
	v_addc_co_u32_e32 v3, vcc, v3, v15, vcc
	v_cmp_gt_i64_e32 vcc, 1, v[0:1]
	s_or_b64 s[10:11], vcc, s[10:11]
	s_waitcnt vmcnt(0) lgkmcnt(0)
	flat_store_byte v[6:7], v8 glc slc
	s_andn2_b64 exec, exec, s[10:11]
	s_cbranch_execnz .LBB4_42
.LBB4_43:
	s_or_b64 exec, exec, s[4:5]
                                        ; implicit-def: $vgpr14_vgpr15
                                        ; implicit-def: $vgpr16_vgpr17
                                        ; implicit-def: $vgpr4_vgpr5
                                        ; implicit-def: $vgpr36_vgpr37
                                        ; implicit-def: $vgpr19
                                        ; implicit-def: $vgpr10_vgpr11
                                        ; implicit-def: $vgpr21
                                        ; implicit-def: $vgpr0
                                        ; implicit-def: $vgpr31
                                        ; implicit-def: $vgpr8_vgpr9
                                        ; implicit-def: $vgpr2_vgpr3
.LBB4_44:
	s_andn2_saveexec_b64 s[44:45], s[6:7]
	s_cbranch_execz .LBB4_1033
; %bb.45:
	s_trap 2
	ds_read_b64 v[6:7], v0
	s_waitcnt lgkmcnt(0)
	v_cmp_ne_u32_e32 vcc, -1, v6
	v_cndmask_b32_e64 v1, 0, 1, vcc
	v_cmp_ne_u32_e32 vcc, -1, v7
	v_addc_co_u32_e64 v6, s[4:5], 0, v1, vcc
	v_lshlrev_b32_e32 v7, 1, v6
	v_cmp_le_i32_e64 s[4:5], v7, v21
	s_and_saveexec_b64 s[6:7], s[4:5]
	s_xor_b64 s[46:47], exec, s[6:7]
	s_cbranch_execz .LBB4_1030
; %bb.46:
	flat_load_dwordx2 v[28:29], v[2:3] offset:104
	s_trap 2
	s_load_dword s4, s[8:9], 0x0
	v_mov_b32_e32 v7, 0
	v_mov_b32_e32 v46, 4
	s_waitcnt lgkmcnt(0)
	s_cmp_lt_u32 s12, s4
	s_cselect_b32 s4, 12, 18
	s_add_u32 s4, s8, s4
	s_addc_u32 s5, s9, 0
	global_load_ushort v25, v7, s[4:5]
	ds_read_b32 v7, v0
	v_cmp_ge_i32_e64 s[4:5], v0, v1
	s_waitcnt lgkmcnt(0)
	v_readfirstlane_b32 s22, v7
	s_and_saveexec_b64 s[6:7], s[4:5]
	s_cbranch_execz .LBB4_56
; %bb.47:
	v_cmp_le_u32_e64 s[4:5], v6, v0
                                        ; implicit-def: $vgpr46
	s_and_saveexec_b64 s[10:11], s[4:5]
	s_xor_b64 s[4:5], exec, s[10:11]
	s_cbranch_execz .LBB4_53
; %bb.48:
	v_cndmask_b32_e64 v7, 0, 1, vcc
	v_sub_u32_e32 v7, v21, v7
	v_cmp_ge_u32_e32 vcc, v0, v7
                                        ; implicit-def: $sgpr12
	s_and_saveexec_b64 s[10:11], vcc
	s_xor_b64 s[10:11], exec, s[10:11]
; %bb.49:
	s_mov_b32 s12, 16
                                        ; implicit-def: $vgpr6
; %bb.50:
	s_or_saveexec_b64 s[10:11], s[10:11]
	v_mov_b32_e32 v46, s12
	s_xor_b64 exec, exec, s[10:11]
; %bb.51:
	v_sub_u32_e32 v6, v21, v6
	v_cmp_ge_i32_e32 vcc, v0, v6
	v_cndmask_b32_e64 v6, 0, 1, vcc
	v_lshlrev_b32_e32 v46, 5, v6
; %bb.52:
	s_or_b64 exec, exec, s[10:11]
.LBB4_53:
	s_andn2_saveexec_b64 s[4:5], s[4:5]
; %bb.54:
	v_mov_b32_e32 v46, 8
; %bb.55:
	s_or_b64 exec, exec, s[4:5]
.LBB4_56:
	s_or_b64 exec, exec, s[6:7]
	v_and_b32_e32 v6, 36, v46
	v_cmp_ne_u32_e32 vcc, 0, v6
	v_mov_b32_e32 v38, -1
	s_and_saveexec_b64 s[4:5], vcc
	s_cbranch_execz .LBB4_58
; %bb.57:
	s_trap 2
	ds_read_b32 v38, v0
.LBB4_58:
	s_or_b64 exec, exec, s[4:5]
	v_and_b32_e32 v6, 24, v46
	v_cmp_ne_u32_e64 s[4:5], 0, v6
	s_and_saveexec_b64 s[6:7], s[4:5]
	s_cbranch_execz .LBB4_60
; %bb.59:
	s_trap 2
	s_waitcnt lgkmcnt(0)
	ds_read_b32 v38, v0
.LBB4_60:
	s_or_b64 exec, exec, s[6:7]
	v_lshrrev_b64 v[6:7], 31, v[8:9]
	v_pk_mov_b32 v[50:51], 0, 0
	v_and_b32_e32 v18, 3, v6
	s_waitcnt lgkmcnt(0)
	v_ashrrev_i32_e32 v39, 31, v38
	v_pk_mov_b32 v[6:7], v[50:51], v[50:51] op_sel:[0,1]
                                        ; implicit-def: $agpr2_agpr3
                                        ; implicit-def: $vgpr24
                                        ; implicit-def: $vgpr26_vgpr27
                                        ; implicit-def: $vgpr34_vgpr35
                                        ; implicit-def: $vgpr22_vgpr23
	s_and_saveexec_b64 s[4:5], vcc
	s_cbranch_execz .LBB4_70
; %bb.61:
	s_trap 2
	ds_read_b64 v[6:7], v0
	v_lshlrev_b64 v[8:9], 3, v[38:39]
	s_movk_i32 s6, 0xa8
                                        ; implicit-def: $agpr2_agpr3
	s_waitcnt lgkmcnt(0)
	v_add_co_u32_e32 v6, vcc, v6, v8
	v_addc_co_u32_e32 v7, vcc, v7, v9, vcc
	flat_load_dwordx2 v[6:7], v[6:7]
	v_and_b32_e32 v8, 0xffff, v18
	s_waitcnt vmcnt(0) lgkmcnt(0)
	v_mad_u64_u32 v[6:7], s[6:7], v8, s6, v[6:7]
	flat_load_dword v8, v[6:7] offset:640
	v_add_co_u32_e32 v50, vcc, 0x1f8, v6
	v_addc_co_u32_e32 v51, vcc, 0, v7, vcc
	s_waitcnt vmcnt(0) lgkmcnt(0)
	v_cmp_eq_u32_e32 vcc, 1, v8
	s_and_saveexec_b64 s[6:7], vcc
	s_cbranch_execz .LBB4_63
; %bb.62:
	flat_load_dwordx2 v[8:9], v[50:51] offset:144
	v_or_b32_e32 v46, 0x2000, v46
	s_waitcnt vmcnt(0) lgkmcnt(0)
	flat_load_dwordx2 v[6:7], v[8:9]
	s_trap 2
	v_accvgpr_write_b32 a2, v8
	v_accvgpr_write_b32 a3, v9
	s_waitcnt vmcnt(0) lgkmcnt(0)
	ds_write_b64 v0, v[6:7]
	flat_load_dwordx2 v[6:7], v[8:9] offset:8
	s_waitcnt vmcnt(0) lgkmcnt(0)
	ds_write_b64 v0, v[6:7]
	flat_load_dwordx2 v[6:7], v[8:9] offset:16
	s_waitcnt vmcnt(0) lgkmcnt(0)
	ds_write_b64 v0, v[6:7]
.LBB4_63:
	s_or_b64 exec, exec, s[6:7]
	flat_load_dwordx2 v[8:9], v[50:51] offset:104
	v_and_b32_e32 v6, 32, v46
	v_cmp_ne_u32_e32 vcc, 0, v6
                                        ; implicit-def: $vgpr22_vgpr23
	s_and_saveexec_b64 s[6:7], vcc
	s_cbranch_execz .LBB4_65
; %bb.64:
	flat_load_dwordx2 v[22:23], v[50:51] offset:56
	s_waitcnt vmcnt(0) lgkmcnt(0)
	flat_store_dwordx2 v[22:23], v[8:9]
.LBB4_65:
	s_or_b64 exec, exec, s[6:7]
	v_and_b32_e32 v6, 4, v46
	v_cmp_ne_u32_e32 vcc, 0, v6
	v_pk_mov_b32 v[6:7], 0, 0
                                        ; implicit-def: $vgpr24
                                        ; implicit-def: $vgpr26_vgpr27
                                        ; implicit-def: $vgpr34_vgpr35
	s_and_saveexec_b64 s[6:7], vcc
	s_cbranch_execz .LBB4_69
; %bb.66:
	v_and_b32_e32 v6, 0x800, v46
	v_cmp_eq_u32_e32 vcc, 0, v6
	s_and_saveexec_b64 s[10:11], vcc
	s_cbranch_execz .LBB4_68
; %bb.67:
	s_trap 2
	ds_write_b64 v0, v[50:51]
.LBB4_68:
	s_or_b64 exec, exec, s[10:11]
	flat_load_dwordx2 v[22:23], v[50:51] offset:48
	v_or_b32_e32 v20, 0x100, v46
	s_waitcnt vmcnt(0) lgkmcnt(0)
	flat_load_dwordx2 v[34:35], v[22:23] glc
	flat_load_dwordx2 v[6:7], v[50:51] offset:96
	flat_load_dword v24, v[50:51] offset:72
	flat_load_dwordx2 v[26:27], v[50:51] offset:16
	s_waitcnt vmcnt(0) lgkmcnt(0)
	v_cmp_eq_u64_e32 vcc, 0, v[6:7]
	v_cndmask_b32_e32 v46, v20, v46, vcc
.LBB4_69:
	s_or_b64 exec, exec, s[6:7]
.LBB4_70:
	s_or_b64 exec, exec, s[4:5]
	v_and_b32_e32 v20, 24, v46
	v_cmp_ne_u32_e32 vcc, 0, v20
                                        ; implicit-def: $vgpr52_vgpr53
	s_and_saveexec_b64 s[4:5], vcc
	s_cbranch_execz .LBB4_78
; %bb.71:
	s_trap 2
	ds_read_b64 v[6:7], v0
	s_waitcnt vmcnt(0) lgkmcnt(0)
	v_lshlrev_b64 v[8:9], 3, v[38:39]
	s_movk_i32 s6, 0xa8
                                        ; implicit-def: $vgpr52_vgpr53
	v_add_co_u32_e32 v6, vcc, v6, v8
	v_addc_co_u32_e32 v7, vcc, v7, v9, vcc
	flat_load_dwordx2 v[6:7], v[6:7]
	v_and_b32_e32 v8, 0xffff, v18
	v_or_b32_e32 v18, 0x100, v46
	s_waitcnt vmcnt(0) lgkmcnt(0)
	v_mad_u64_u32 v[50:51], s[6:7], v8, s6, v[6:7]
	flat_load_dwordx4 v[6:9], v[50:51] offset:96
	s_waitcnt vmcnt(0) lgkmcnt(0)
	v_cmp_eq_u64_e32 vcc, 0, v[6:7]
	v_cndmask_b32_e32 v46, v18, v46, vcc
	v_and_b32_e32 v18, 16, v46
	v_cmp_ne_u32_e32 vcc, 0, v18
	s_and_saveexec_b64 s[6:7], vcc
	s_cbranch_execz .LBB4_73
; %bb.72:
	flat_load_dwordx2 v[52:53], v[50:51] offset:120
	flat_load_dwordx2 v[22:23], v[50:51] offset:48
	;; [unrolled: 1-line block ×3, first 2 shown]
.LBB4_73:
	s_or_b64 exec, exec, s[6:7]
	v_and_b32_e32 v18, 8, v46
	v_cmp_ne_u32_e32 vcc, 0, v18
	s_and_saveexec_b64 s[6:7], vcc
	s_cbranch_execz .LBB4_77
; %bb.74:
	v_and_b32_e32 v18, 0x800, v46
	v_cmp_eq_u32_e32 vcc, 0, v18
	s_and_saveexec_b64 s[10:11], vcc
	s_cbranch_execz .LBB4_76
; %bb.75:
	s_trap 2
	ds_write_b64 v0, v[50:51]
.LBB4_76:
	s_or_b64 exec, exec, s[10:11]
	s_waitcnt vmcnt(0) lgkmcnt(0)
	flat_load_dwordx2 v[22:23], v[50:51] offset:56
	s_waitcnt vmcnt(0) lgkmcnt(0)
	flat_load_dwordx2 v[34:35], v[22:23] glc
	flat_load_dword v24, v[50:51] offset:72
	flat_load_dwordx2 v[26:27], v[50:51] offset:16
.LBB4_77:
	s_or_b64 exec, exec, s[6:7]
.LBB4_78:
	s_or_b64 exec, exec, s[4:5]
	v_cmp_eq_u32_e64 s[4:5], 0, v0
	s_and_saveexec_b64 s[6:7], s[4:5]
	s_cbranch_execz .LBB4_80
; %bb.79:
	flat_load_dwordx2 v[48:49], v[2:3] offset:32
	s_waitcnt vmcnt(0)
	v_mov_b32_e32 v32, v12
	v_mov_b32_e32 v33, v13
	;; [unrolled: 1-line block ×4, first 2 shown]
	ds_write2_b64 v0, v[32:33], v[38:39] offset1:1
	s_trap 2
	s_waitcnt lgkmcnt(0)
	ds_write_b64 v0, v[48:49]
	ds_write_b64 v0, v[28:29]
.LBB4_80:
	s_or_b64 exec, exec, s[6:7]
	s_mov_b64 s[50:51], 0
	s_waitcnt vmcnt(0)
	v_cmp_ne_u64_e32 vcc, 0, v[4:5]
	v_pk_mov_b32 v[28:29], 0, 0
	s_and_saveexec_b64 s[48:49], vcc
	s_cbranch_execz .LBB4_994
; %bb.81:
	flat_load_dword v20, v[2:3] offset:4
	v_cmp_ne_u32_e64 s[10:11], v15, v19
	s_waitcnt lgkmcnt(0)
	v_ashrrev_i32_e32 v15, 31, v24
	v_lshlrev_b32_e32 v18, 9, v36
	v_cmp_ne_u32_e64 s[6:7], v14, v19
	v_accvgpr_write_b32 a9, v15
	v_and_b32_e32 v14, 63, v31
	v_lshrrev_b32_e32 v30, 6, v21
	v_ashrrev_i32_e32 v15, 31, v0
	v_mov_b32_e32 v19, 0xfffffe00
	v_cvt_f64_u32_e32 v[2:3], 0
	s_movk_i32 s27, 0x200
	v_cmp_ne_u64_e32 vcc, v[12:13], v[10:11]
	s_xor_b64 s[24:25], s[20:21], -1
	v_and_b32_e32 v32, 0x3ffffe00, v18
	v_cmp_eq_u32_e64 s[20:21], 0, v14
	v_lshrrev_b32_e32 v10, 26, v15
	v_lshl_add_u32 v14, v30, 9, v19
	s_ashr_i32 s23, s22, 31
	v_and_b32_e32 v47, 0xffffffc0, v21
	v_ldexp_f64 v[2:3], v[2:3], 32
	s_and_b64 s[54:55], s[24:25], vcc
	v_cvt_f64_u32_e32 v[12:13], v32
	v_add_u32_e32 v10, v0, v10
	v_ashrrev_i32_e32 v15, 31, v14
	v_add_co_u32_e32 v58, vcc, s27, v14
	s_lshr_b32 s23, s23, 24
	v_subrev_u32_e32 v38, 64, v47
	v_add_f64 v[40:41], v[2:3], v[12:13]
	v_and_b32_e32 v2, 0xffffffc0, v10
	v_addc_co_u32_e32 v59, vcc, 0, v15, vcc
	v_lshlrev_b32_e32 v57, 10, v30
	s_add_i32 s22, s22, s23
	v_ashrrev_i32_e32 v11, 31, v38
	v_add_co_u32_e32 v60, vcc, 64, v38
	v_sub_u32_e32 v2, v0, v2
	v_lshlrev_b32_e32 v28, 4, v0
	s_movk_i32 s26, 0x400
	v_add_u32_e32 v54, 0xfffffc00, v57
	s_ashr_i32 s83, s22, 8
	v_ashrrev_i32_e32 v3, 6, v10
	v_addc_co_u32_e32 v61, vcc, 0, v11, vcc
	v_cmp_lt_i32_e64 s[22:23], v2, v1
	v_cmp_le_i32_e64 s[24:25], v2, v1
	v_accvgpr_write_b32 a4, v50
	v_accvgpr_write_b32 a1, v25
	v_cmp_ne_u32_sdwa s[52:53], v21, v25 src0_sel:DWORD src1_sel:WORD_0
	v_pk_mov_b32 v[48:49], 0, 0
	v_ashrrev_i32_e32 v29, 31, v28
	v_accvgpr_write_b32 a10, v28
	v_ashrrev_i32_e32 v33, 31, v54
	v_sub_u32_e32 v3, 0, v3
	v_add_co_u32_e32 v25, vcc, s26, v54
	v_accvgpr_write_b32 a6, v52
	v_accvgpr_write_b32 a5, v51
	v_mov_b32_e32 v36, 0
	v_cmp_eq_u32_e64 s[12:13], 64, v21
	v_cmp_ne_u32_e64 s[14:15], 64, v21
	v_accvgpr_write_b32 a0, v31
	s_movk_i32 s80, 0xffc0
	v_cmp_eq_u64_e64 s[16:17], 0, v[52:53]
	v_cmp_ne_u64_e64 s[18:19], 0, v[52:53]
	s_movk_i32 s81, 0x270e
	s_movk_i32 s82, 0x108
	v_mov_b32_e32 v56, 1
	v_accvgpr_write_b32 a11, v29
	v_accvgpr_write_b32 a13, v3
	v_addc_co_u32_e32 v18, vcc, 0, v33, vcc
	v_accvgpr_write_b32 a12, v2
	v_cmp_gt_i32_e64 s[26:27], 1, v2
	v_pk_mov_b32 v[28:29], v[48:49], v[48:49] op_sel:[0,1]
	v_accvgpr_write_b32 a7, v53
	v_accvgpr_write_b32 a8, v38
	s_trap 2
	s_waitcnt vmcnt(0)
	v_and_b32_e32 v1, 1, v20
	v_cmp_eq_u32_e64 s[28:29], 1, v1
	s_xor_b64 s[56:57], s[28:29], -1
	s_branch .LBB4_83
.LBB4_82:                               ;   in Loop: Header=BB4_83 Depth=1
	s_or_b64 exec, exec, s[30:31]
	v_add_co_u32_e32 v48, vcc, v48, v32
	v_addc_co_u32_e32 v49, vcc, 0, v49, vcc
	v_cmp_ge_u64_e32 vcc, v[48:49], v[4:5]
	s_or_b64 s[50:51], vcc, s[50:51]
	s_andn2_b64 exec, exec, s[50:51]
	s_cbranch_execz .LBB4_993
.LBB4_83:                               ; =>This Loop Header: Depth=1
                                        ;     Child Loop BB4_102 Depth 2
                                        ;     Child Loop BB4_137 Depth 2
	;; [unrolled: 1-line block ×8, first 2 shown]
                                        ;       Child Loop BB4_220 Depth 3
                                        ;     Child Loop BB4_226 Depth 2
                                        ;       Child Loop BB4_227 Depth 3
                                        ;     Child Loop BB4_235 Depth 2
                                        ;     Child Loop BB4_240 Depth 2
                                        ;       Child Loop BB4_241 Depth 3
                                        ;     Child Loop BB4_284 Depth 2
                                        ;     Child Loop BB4_389 Depth 2
	;; [unrolled: 1-line block ×25, first 2 shown]
                                        ;       Child Loop BB4_305 Depth 3
                                        ;     Child Loop BB4_311 Depth 2
                                        ;       Child Loop BB4_312 Depth 3
                                        ;     Child Loop BB4_320 Depth 2
                                        ;     Child Loop BB4_325 Depth 2
                                        ;       Child Loop BB4_326 Depth 3
                                        ;     Child Loop BB4_370 Depth 2
                                        ;     Child Loop BB4_408 Depth 2
	;; [unrolled: 1-line block ×17, first 2 shown]
	v_add_co_u32_e32 v2, vcc, v48, v16
	v_addc_co_u32_e32 v3, vcc, v49, v17, vcc
	v_sub_co_u32_e32 v1, vcc, v4, v48
	v_subb_co_u32_e32 v10, vcc, v5, v49, vcc
	v_cvt_f64_u32_e32 v[12:13], v10
	v_ldexp_f64 v[12:13], v[12:13], 32
	v_cvt_f64_u32_e32 v[14:15], v1
	v_add_f64 v[12:13], v[12:13], v[14:15]
	v_max_f64 v[14:15], v[40:41], v[40:41]
	v_min_f64 v[12:13], v[14:15], v[12:13]
	v_cvt_i32_f64_e32 v1, v[12:13]
	v_max_i32_e32 v19, 0, v1
	v_add_u32_e32 v10, 15, v19
	v_ashrrev_i32_e32 v12, 31, v10
	v_lshrrev_b32_e32 v12, 28, v12
	v_add_u32_e32 v10, v10, v12
	v_and_b32_e32 v10, -16, v10
	v_max_i32_e32 v42, s83, v10
	v_cmp_gt_i32_e64 s[30:31], 1, v1
	v_cmp_lt_i32_e64 s[34:35], 0, v1
	s_mov_b64 s[58:59], 0
	s_and_saveexec_b64 vcc, s[6:7]
	s_xor_b64 s[60:61], exec, vcc
	s_cbranch_execz .LBB4_91
; %bb.84:                               ;   in Loop: Header=BB4_83 Depth=1
	s_mov_b64 s[38:39], 0
	s_and_saveexec_b64 vcc, s[10:11]
	s_xor_b64 s[58:59], exec, vcc
	s_cbranch_execz .LBB4_566
; %bb.85:                               ;   in Loop: Header=BB4_83 Depth=1
	v_mov_b32_e32 v1, 0
	s_and_saveexec_b64 s[62:63], s[34:35]
	s_cbranch_execz .LBB4_424
; %bb.86:                               ;   in Loop: Header=BB4_83 Depth=1
	s_and_saveexec_b64 s[36:37], s[4:5]
	s_cbranch_execz .LBB4_88
; %bb.87:                               ;   in Loop: Header=BB4_83 Depth=1
	s_trap 2
	ds_read_b128 v[12:15], v0
	s_waitcnt lgkmcnt(0)
	v_add_co_u32_e32 v12, vcc, v12, v2
	v_addc_co_u32_e32 v13, vcc, v13, v3, vcc
	v_add_co_u32_e32 v1, vcc, v14, v2
	v_addc_co_u32_e32 v2, vcc, v15, v3, vcc
	v_cmp_ne_u64_e32 vcc, 0, v[14:15]
	v_cndmask_b32_e32 v3, 0, v2, vcc
	v_cndmask_b32_e32 v2, 0, v1, vcc
	ds_write_b64 v0, v[12:13]
	ds_write_b64 v0, v[2:3]
.LBB4_88:                               ;   in Loop: Header=BB4_83 Depth=1
	s_or_b64 exec, exec, s[36:37]
	v_and_b32_e32 v1, 12, v46
	v_cmp_ne_u32_e32 vcc, 0, v1
	s_mov_b64 s[38:39], -1
	s_and_saveexec_b64 s[36:37], vcc
	s_cbranch_execz .LBB4_115
; %bb.89:                               ;   in Loop: Header=BB4_83 Depth=1
	v_and_b32_e32 v2, 8, v46
	v_add_co_u32_e32 v14, vcc, v34, v2
	v_addc_co_u32_e32 v15, vcc, 0, v35, vcc
	v_add_co_u32_e32 v12, vcc, 1, v8
	v_addc_co_u32_e32 v13, vcc, 0, v9, vcc
	v_cmp_lt_u64_e32 vcc, v[14:15], v[12:13]
	v_mov_b32_e32 v1, 1
	s_and_saveexec_b64 s[38:39], vcc
	s_cbranch_execz .LBB4_114
; %bb.90:                               ;   in Loop: Header=BB4_83 Depth=1
	s_mov_b64 s[40:41], 0
	v_mov_b32_e32 v1, 0
                                        ; implicit-def: $sgpr42_sgpr43
	s_branch .LBB4_102
.LBB4_91:                               ;   in Loop: Header=BB4_83 Depth=1
	s_andn2_saveexec_b64 s[60:61], s[60:61]
	s_cbranch_execz .LBB4_991
.LBB4_92:                               ;   in Loop: Header=BB4_83 Depth=1
	s_mov_b64 s[38:39], 0
	s_mov_b64 s[36:37], s[58:59]
	s_and_saveexec_b64 vcc, s[54:55]
	s_xor_b64 s[62:63], exec, vcc
	s_cbranch_execz .LBB4_615
; %bb.93:                               ;   in Loop: Header=BB4_83 Depth=1
	v_mov_b32_e32 v1, 0
	s_and_saveexec_b64 s[64:65], s[34:35]
	s_cbranch_execz .LBB4_478
; %bb.94:                               ;   in Loop: Header=BB4_83 Depth=1
	s_and_saveexec_b64 s[36:37], s[4:5]
	s_cbranch_execz .LBB4_96
; %bb.95:                               ;   in Loop: Header=BB4_83 Depth=1
	s_trap 2
	ds_read2_b64 v[12:15], v0 offset1:1
	ds_read_b64 v[38:39], v0
	s_waitcnt lgkmcnt(0)
	v_add_co_u32_e32 v12, vcc, v12, v2
	v_addc_co_u32_e32 v13, vcc, v13, v3, vcc
	ds_write_b64 v0, v[12:13]
	v_add_co_u32_e32 v12, vcc, v14, v2
	v_addc_co_u32_e32 v13, vcc, v15, v3, vcc
	v_add_co_u32_e32 v1, vcc, v38, v2
	v_addc_co_u32_e32 v2, vcc, v39, v3, vcc
	v_cmp_ne_u64_e32 vcc, 0, v[38:39]
	v_cndmask_b32_e32 v3, 0, v2, vcc
	v_cndmask_b32_e32 v2, 0, v1, vcc
	ds_write_b64 v0, v[12:13]
	ds_write_b64 v0, v[2:3]
.LBB4_96:                               ;   in Loop: Header=BB4_83 Depth=1
	s_or_b64 exec, exec, s[36:37]
	v_and_b32_e32 v1, 8, v46
	v_cmp_ne_u32_e32 vcc, 0, v1
	s_mov_b64 s[38:39], -1
	s_and_saveexec_b64 s[36:37], vcc
	s_cbranch_execz .LBB4_143
; %bb.97:                               ;   in Loop: Header=BB4_83 Depth=1
	v_add_co_u32_e32 v12, vcc, 8, v34
	v_addc_co_u32_e32 v13, vcc, 0, v35, vcc
	v_add_co_u32_e32 v2, vcc, 1, v8
	v_addc_co_u32_e32 v3, vcc, 0, v9, vcc
	v_cmp_lt_u64_e32 vcc, v[12:13], v[2:3]
	v_mov_b32_e32 v1, 1
	s_and_saveexec_b64 s[38:39], vcc
	s_cbranch_execz .LBB4_142
; %bb.98:                               ;   in Loop: Header=BB4_83 Depth=1
	s_mov_b64 s[40:41], 0
	v_mov_b32_e32 v1, 0
                                        ; implicit-def: $sgpr42_sgpr43
	s_branch .LBB4_109
.LBB4_99:                               ;   in Loop: Header=BB4_102 Depth=2
	s_or_b64 exec, exec, s[70:71]
	v_mov_b32_e32 v3, 0
	s_orn2_b64 s[68:69], s[68:69], exec
.LBB4_100:                              ;   in Loop: Header=BB4_102 Depth=2
	s_or_b64 exec, exec, s[66:67]
	s_andn2_b64 vcc, s[42:43], exec
	s_and_b64 s[42:43], s[68:69], exec
	s_or_b64 s[42:43], vcc, s[42:43]
	v_mov_b32_e32 v1, v3
.LBB4_101:                              ;   in Loop: Header=BB4_102 Depth=2
	s_or_b64 exec, exec, s[64:65]
	s_waitcnt vmcnt(0) lgkmcnt(0)
	v_add_co_u32_e32 v14, vcc, v34, v2
	v_addc_co_u32_e32 v15, vcc, 0, v35, vcc
	v_cmp_ge_u64_e32 vcc, v[14:15], v[12:13]
	s_xor_b64 s[64:65], s[42:43], -1
	s_or_b64 vcc, s[64:65], vcc
	s_and_b64 vcc, exec, vcc
	s_or_b64 s[40:41], vcc, s[40:41]
	s_andn2_b64 exec, exec, s[40:41]
	s_cbranch_execz .LBB4_113
.LBB4_102:                              ;   Parent Loop BB4_83 Depth=1
                                        ; =>  This Inner Loop Header: Depth=2
	s_sleep 1
	flat_load_dwordx2 v[34:35], v[22:23] glc
	v_and_b32_e32 v3, 64, v46
	v_cmp_eq_u32_e32 vcc, 0, v3
	s_andn2_b64 s[42:43], s[42:43], exec
	s_and_saveexec_b64 s[64:65], vcc
	s_cbranch_execz .LBB4_101
; %bb.103:                              ;   in Loop: Header=BB4_102 Depth=2
	v_add_u32_e32 v3, 1, v1
	v_cmp_lt_i32_e32 vcc, s81, v1
	s_mov_b64 s[68:69], -1
	s_and_saveexec_b64 s[66:67], vcc
	s_cbranch_execz .LBB4_100
; %bb.104:                              ;   in Loop: Header=BB4_102 Depth=2
	s_trap 2
	ds_read_b64 v[14:15], v0
	s_waitcnt vmcnt(0) lgkmcnt(0)
	flat_load_dword v1, v[14:15] glc
	s_waitcnt vmcnt(0) lgkmcnt(0)
	buffer_invl2
	buffer_wbinvl1_vol
	v_cmp_ne_u32_e32 vcc, 0, v1
	s_and_saveexec_b64 s[70:71], vcc
	s_cbranch_execz .LBB4_99
; %bb.105:                              ;   in Loop: Header=BB4_102 Depth=2
	v_or_b32_e32 v46, 64, v46
	s_xor_b64 s[68:69], exec, -1
	ds_write_b32 v0, v1
	s_trap 2
	s_branch .LBB4_99
.LBB4_106:                              ;   in Loop: Header=BB4_109 Depth=2
	s_or_b64 exec, exec, s[72:73]
	v_mov_b32_e32 v10, 0
	s_orn2_b64 s[70:71], s[70:71], exec
.LBB4_107:                              ;   in Loop: Header=BB4_109 Depth=2
	s_or_b64 exec, exec, s[68:69]
	s_andn2_b64 vcc, s[42:43], exec
	s_and_b64 s[42:43], s[70:71], exec
	s_or_b64 s[42:43], vcc, s[42:43]
	v_mov_b32_e32 v1, v10
.LBB4_108:                              ;   in Loop: Header=BB4_109 Depth=2
	s_or_b64 exec, exec, s[66:67]
	s_waitcnt vmcnt(0) lgkmcnt(0)
	v_add_co_u32_e32 v12, vcc, 8, v34
	v_addc_co_u32_e32 v13, vcc, 0, v35, vcc
	v_cmp_ge_u64_e32 vcc, v[12:13], v[2:3]
	s_xor_b64 s[66:67], s[42:43], -1
	s_or_b64 vcc, s[66:67], vcc
	s_and_b64 vcc, exec, vcc
	s_or_b64 s[40:41], vcc, s[40:41]
	s_andn2_b64 exec, exec, s[40:41]
	s_cbranch_execz .LBB4_141
.LBB4_109:                              ;   Parent Loop BB4_83 Depth=1
                                        ; =>  This Inner Loop Header: Depth=2
	s_sleep 1
	flat_load_dwordx2 v[34:35], v[22:23] glc
	v_and_b32_e32 v10, 64, v46
	v_cmp_eq_u32_e32 vcc, 0, v10
	s_andn2_b64 s[42:43], s[42:43], exec
	s_and_saveexec_b64 s[66:67], vcc
	s_cbranch_execz .LBB4_108
; %bb.110:                              ;   in Loop: Header=BB4_109 Depth=2
	v_add_u32_e32 v10, 1, v1
	v_cmp_lt_i32_e32 vcc, s81, v1
	s_mov_b64 s[70:71], -1
	s_and_saveexec_b64 s[68:69], vcc
	s_cbranch_execz .LBB4_107
; %bb.111:                              ;   in Loop: Header=BB4_109 Depth=2
	s_trap 2
	ds_read_b64 v[12:13], v0
	s_waitcnt vmcnt(0) lgkmcnt(0)
	flat_load_dword v1, v[12:13] glc
	s_waitcnt vmcnt(0) lgkmcnt(0)
	buffer_invl2
	buffer_wbinvl1_vol
	v_cmp_ne_u32_e32 vcc, 0, v1
	s_and_saveexec_b64 s[72:73], vcc
	s_cbranch_execz .LBB4_106
; %bb.112:                              ;   in Loop: Header=BB4_109 Depth=2
	v_or_b32_e32 v46, 64, v46
	s_xor_b64 s[70:71], exec, -1
	ds_write_b32 v0, v1
	s_trap 2
	s_branch .LBB4_106
.LBB4_113:                              ;   in Loop: Header=BB4_83 Depth=1
	s_or_b64 exec, exec, s[40:41]
	v_and_b32_e32 v1, 12, v46
.LBB4_114:                              ;   in Loop: Header=BB4_83 Depth=1
	s_or_b64 exec, exec, s[38:39]
	v_cmp_eq_u32_e32 vcc, 0, v1
	s_orn2_b64 s[38:39], vcc, exec
	;;#ASMSTART
	s_wakeup
	;;#ASMEND
.LBB4_115:                              ;   in Loop: Header=BB4_83 Depth=1
	s_or_b64 exec, exec, s[36:37]
	s_xor_b64 vcc, s[38:39], -1
	v_min_i32_e32 v42, v42, v19
	s_and_saveexec_b64 s[38:39], vcc
	s_cbranch_execz .LBB4_129
; %bb.116:                              ;   in Loop: Header=BB4_83 Depth=1
	v_and_b32_e32 v1, 0x108, v46
	v_cmp_ne_u32_e32 vcc, s82, v1
                                        ; implicit-def: $vgpr2_vgpr3
	s_and_saveexec_b64 s[36:37], vcc
	s_xor_b64 vcc, exec, s[36:37]
; %bb.117:                              ;   in Loop: Header=BB4_83 Depth=1
	v_and_b32_e32 v2, 7, v8
	v_mov_b32_e32 v3, v36
; %bb.118:                              ;   in Loop: Header=BB4_83 Depth=1
	s_andn2_saveexec_b64 vcc, vcc
	s_cbranch_execz .LBB4_120
; %bb.119:                              ;   in Loop: Header=BB4_83 Depth=1
	v_and_b32_e32 v2, 7, v8
	v_mov_b32_e32 v3, v36
	v_mad_u64_u32 v[12:13], s[36:37], v2, 24, v[6:7]
	v_ashrrev_i32_e32 v43, 31, v42
	flat_store_dwordx2 v[12:13], v[42:43] offset:8
.LBB4_120:                              ;   in Loop: Header=BB4_83 Depth=1
	s_or_b64 exec, exec, vcc
	v_and_b32_e32 v1, 0x100, v46
	v_cmp_ne_u32_e32 vcc, 0, v1
	s_mov_b64 s[36:37], -1
                                        ; implicit-def: $vgpr12_vgpr13
	s_and_saveexec_b64 s[40:41], vcc
	s_cbranch_execz .LBB4_124
; %bb.121:                              ;   in Loop: Header=BB4_83 Depth=1
	v_mad_u64_u32 v[14:15], vcc, v2, 24, v[6:7]
	v_mov_b32_e32 v10, v15
	v_mad_u64_u32 v[12:13], vcc, v3, 24, v[10:11]
	v_mov_b32_e32 v15, v12
	flat_load_dword v1, v[14:15]
                                        ; implicit-def: $vgpr12_vgpr13
	s_waitcnt vmcnt(0) lgkmcnt(0)
	v_cmp_ne_u32_e32 vcc, 1, v1
	v_cmp_eq_u32_e64 s[36:37], 1, v1
	s_and_saveexec_b64 s[42:43], s[36:37]
	s_cbranch_execz .LBB4_123
; %bb.122:                              ;   in Loop: Header=BB4_83 Depth=1
	flat_load_dword v12, v[14:15] offset:4 glc
	s_waitcnt vmcnt(0) lgkmcnt(0)
	v_ashrrev_i32_e32 v13, 31, v12
.LBB4_123:                              ;   in Loop: Header=BB4_83 Depth=1
	s_or_b64 exec, exec, s[42:43]
	s_orn2_b64 s[36:37], vcc, exec
.LBB4_124:                              ;   in Loop: Header=BB4_83 Depth=1
	s_or_b64 exec, exec, s[40:41]
	s_and_saveexec_b64 vcc, s[36:37]
; %bb.125:                              ;   in Loop: Header=BB4_83 Depth=1
	v_mul_lo_u32 v1, v3, v24
	v_accvgpr_read_b32 v3, a9
	v_mul_lo_u32 v3, v2, v3
	v_mad_u64_u32 v[12:13], s[36:37], v2, v24, 0
	v_add3_u32 v13, v13, v3, v1
; %bb.126:                              ;   in Loop: Header=BB4_83 Depth=1
	s_or_b64 exec, exec, vcc
	v_add_co_u32_e32 v2, vcc, v26, v12
	v_addc_co_u32_e32 v3, vcc, v27, v13, vcc
	v_and_b32_e32 v1, 0x2000, v46
	v_cmp_ne_u32_e32 vcc, 0, v1
	s_trap 2
	ds_write_b64 v0, v[2:3]
	s_and_saveexec_b64 s[36:37], vcc
	s_cbranch_execz .LBB4_128
; %bb.127:                              ;   in Loop: Header=BB4_83 Depth=1
	ds_read_b64 v[2:3], v0 offset:584
	s_waitcnt lgkmcnt(0)
	v_add_co_u32_e32 v2, vcc, 1, v2
	v_addc_co_u32_e32 v3, vcc, 0, v3, vcc
	ds_write_b64 v0, v[2:3] offset:584
.LBB4_128:                              ;   in Loop: Header=BB4_83 Depth=1
	s_or_b64 exec, exec, s[36:37]
	v_add_co_u32_e32 v8, vcc, 1, v8
	v_addc_co_u32_e32 v9, vcc, 0, v9, vcc
.LBB4_129:                              ;   in Loop: Header=BB4_83 Depth=1
	s_or_b64 exec, exec, s[38:39]
	s_and_saveexec_b64 s[36:37], s[14:15]
	s_cbranch_execz .LBB4_172
; %bb.130:                              ;   in Loop: Header=BB4_83 Depth=1
	s_and_saveexec_b64 vcc, s[52:53]
	s_xor_b64 s[38:39], exec, vcc
	s_cbranch_execz .LBB4_169
; %bb.131:                              ;   in Loop: Header=BB4_83 Depth=1
	s_and_saveexec_b64 s[40:41], s[20:21]
	s_cbranch_execz .LBB4_168
; %bb.132:                              ;   in Loop: Header=BB4_83 Depth=1
	s_mov_b64 s[64:65], exec
	v_mbcnt_lo_u32_b32 v1, s64, 0
	v_mbcnt_hi_u32_b32 v1, s65, v1
	v_cmp_eq_u32_e32 vcc, 0, v1
	s_waitcnt vmcnt(0) lgkmcnt(0)
	buffer_wbinvl1_vol
	s_and_saveexec_b64 s[42:43], vcc
	s_cbranch_execz .LBB4_134
; %bb.133:                              ;   in Loop: Header=BB4_83 Depth=1
	s_bcnt1_i32_b64 vcc_lo, s[64:65]
	v_mov_b32_e32 v2, vcc_lo
	v_mov_b32_e32 v3, v36
	ds_add_u64 v0, v[2:3]
	s_trap 2
.LBB4_134:                              ;   in Loop: Header=BB4_83 Depth=1
	s_or_b64 exec, exec, s[42:43]
	s_trap 2
	ds_read_b64 v[2:3], v0
	v_add_co_u32_e32 v28, vcc, v28, v30
	v_addc_co_u32_e32 v29, vcc, 0, v29, vcc
	s_waitcnt lgkmcnt(0)
	v_cmp_lt_u64_e32 vcc, v[2:3], v[28:29]
	s_and_saveexec_b64 s[42:43], vcc
	s_cbranch_execz .LBB4_167
; %bb.135:                              ;   in Loop: Header=BB4_83 Depth=1
	s_mov_b32 s74, 0
	s_mov_b64 s[64:65], 0
                                        ; implicit-def: $sgpr66_sgpr67
                                        ; implicit-def: $sgpr68_sgpr69
	s_branch .LBB4_137
.LBB4_136:                              ;   in Loop: Header=BB4_137 Depth=2
	s_or_b64 exec, exec, s[72:73]
	s_and_b64 vcc, exec, vcc
	s_or_b64 s[64:65], vcc, s[64:65]
	s_andn2_b64 vcc, s[66:67], exec
	s_and_b64 s[66:67], s[68:69], exec
	s_or_b64 s[66:67], vcc, s[66:67]
	s_andn2_b64 exec, exec, s[64:65]
	s_cbranch_execz .LBB4_165
.LBB4_137:                              ;   Parent Loop BB4_83 Depth=1
                                        ; =>  This Inner Loop Header: Depth=2
	s_add_i32 s74, s74, 1
	s_cmpk_lg_i32 s74, 0x2710
	s_cselect_b64 s[70:71], -1, 0
	s_and_b64 vcc, exec, s[70:71]
                                        ; implicit-def: $sgpr72_sgpr73
	s_cbranch_vccnz .LBB4_139
; %bb.138:                              ;   in Loop: Header=BB4_137 Depth=2
	s_trap 2
	ds_read_b64 v[2:3], v0
	s_andn2_b64 s[70:71], s[70:71], exec
	s_mov_b32 s74, 0
	s_mov_b64 s[72:73], -1
	s_waitcnt lgkmcnt(0)
	flat_load_dword v1, v[2:3] glc
	s_waitcnt vmcnt(0) lgkmcnt(0)
	buffer_invl2
	buffer_wbinvl1_vol
	v_cmp_eq_u32_e32 vcc, 0, v1
	s_and_b64 vcc, vcc, exec
	s_or_b64 s[70:71], s[70:71], vcc
.LBB4_139:                              ;   in Loop: Header=BB4_137 Depth=2
	s_andn2_b64 s[68:69], s[68:69], exec
	s_and_b64 s[72:73], s[72:73], exec
	s_mov_b64 vcc, -1
	s_or_b64 s[68:69], s[68:69], s[72:73]
	s_and_saveexec_b64 s[72:73], s[70:71]
	s_cbranch_execz .LBB4_136
; %bb.140:                              ;   in Loop: Header=BB4_137 Depth=2
	s_sleep 1
	s_trap 2
	ds_read_b64 v[2:3], v0
	s_andn2_b64 s[68:69], s[68:69], exec
	s_waitcnt lgkmcnt(0)
	v_cmp_ge_u64_e32 vcc, v[2:3], v[28:29]
	s_orn2_b64 vcc, vcc, exec
	s_branch .LBB4_136
.LBB4_141:                              ;   in Loop: Header=BB4_83 Depth=1
	s_or_b64 exec, exec, s[40:41]
	v_and_b32_e32 v1, 8, v46
.LBB4_142:                              ;   in Loop: Header=BB4_83 Depth=1
	s_or_b64 exec, exec, s[38:39]
	v_cmp_eq_u32_e32 vcc, 0, v1
	s_orn2_b64 s[38:39], vcc, exec
	;;#ASMSTART
	s_wakeup
	;;#ASMEND
.LBB4_143:                              ;   in Loop: Header=BB4_83 Depth=1
	s_or_b64 exec, exec, s[36:37]
	s_xor_b64 vcc, s[38:39], -1
	v_min_i32_e32 v42, v42, v19
	s_and_saveexec_b64 s[38:39], vcc
	s_cbranch_execz .LBB4_153
; %bb.144:                              ;   in Loop: Header=BB4_83 Depth=1
	v_and_b32_e32 v1, 0x100, v46
	v_cmp_ne_u32_e32 vcc, 0, v1
	v_and_b32_e32 v1, 7, v8
	s_mov_b64 s[36:37], -1
                                        ; implicit-def: $vgpr2_vgpr3
	s_and_saveexec_b64 s[40:41], vcc
	s_cbranch_execz .LBB4_148
; %bb.145:                              ;   in Loop: Header=BB4_83 Depth=1
	v_mad_u64_u32 v[12:13], vcc, v1, 24, v[6:7]
	flat_load_dword v2, v[12:13]
	v_ashrrev_i32_e32 v43, 31, v42
	flat_store_dwordx2 v[12:13], v[42:43] offset:8
	s_waitcnt vmcnt(0) lgkmcnt(0)
	v_cmp_ne_u32_e32 vcc, 1, v2
	v_cmp_eq_u32_e64 s[36:37], 1, v2
                                        ; implicit-def: $vgpr2_vgpr3
	s_and_saveexec_b64 s[42:43], s[36:37]
	s_cbranch_execz .LBB4_147
; %bb.146:                              ;   in Loop: Header=BB4_83 Depth=1
	flat_load_dword v2, v[12:13] offset:4 glc
	s_waitcnt vmcnt(0) lgkmcnt(0)
	v_ashrrev_i32_e32 v3, 31, v2
.LBB4_147:                              ;   in Loop: Header=BB4_83 Depth=1
	s_or_b64 exec, exec, s[42:43]
	s_orn2_b64 s[36:37], vcc, exec
.LBB4_148:                              ;   in Loop: Header=BB4_83 Depth=1
	s_or_b64 exec, exec, s[40:41]
	s_and_saveexec_b64 vcc, s[36:37]
; %bb.149:                              ;   in Loop: Header=BB4_83 Depth=1
	v_mad_i64_i32 v[2:3], s[36:37], v1, v24, 0
; %bb.150:                              ;   in Loop: Header=BB4_83 Depth=1
	s_or_b64 exec, exec, vcc
	v_add_co_u32_e32 v2, vcc, v26, v2
	v_addc_co_u32_e32 v3, vcc, v27, v3, vcc
	v_and_b32_e32 v1, 0x2000, v46
	v_cmp_ne_u32_e32 vcc, 0, v1
	ds_write_b64 v0, v[2:3] offset:792
	s_and_saveexec_b64 s[36:37], vcc
	s_cbranch_execz .LBB4_152
; %bb.151:                              ;   in Loop: Header=BB4_83 Depth=1
	ds_read_b64 v[2:3], v0 offset:584
	s_waitcnt lgkmcnt(0)
	v_add_co_u32_e32 v2, vcc, 1, v2
	v_addc_co_u32_e32 v3, vcc, 0, v3, vcc
	ds_write_b64 v0, v[2:3] offset:584
.LBB4_152:                              ;   in Loop: Header=BB4_83 Depth=1
	s_or_b64 exec, exec, s[36:37]
	v_add_co_u32_e32 v8, vcc, 1, v8
	v_addc_co_u32_e32 v9, vcc, 0, v9, vcc
.LBB4_153:                              ;   in Loop: Header=BB4_83 Depth=1
	s_or_b64 exec, exec, s[38:39]
	s_and_saveexec_b64 s[36:37], s[14:15]
	s_cbranch_execz .LBB4_191
; %bb.154:                              ;   in Loop: Header=BB4_83 Depth=1
	s_and_saveexec_b64 vcc, s[52:53]
	s_xor_b64 s[38:39], exec, vcc
	s_cbranch_execz .LBB4_188
; %bb.155:                              ;   in Loop: Header=BB4_83 Depth=1
	s_and_saveexec_b64 s[40:41], s[20:21]
	s_cbranch_execz .LBB4_187
; %bb.156:                              ;   in Loop: Header=BB4_83 Depth=1
	s_mov_b64 s[66:67], exec
	v_mbcnt_lo_u32_b32 v1, s66, 0
	v_mbcnt_hi_u32_b32 v1, s67, v1
	v_cmp_eq_u32_e32 vcc, 0, v1
	s_waitcnt vmcnt(0) lgkmcnt(0)
	buffer_wbinvl1_vol
	s_and_saveexec_b64 s[42:43], vcc
	s_cbranch_execz .LBB4_158
; %bb.157:                              ;   in Loop: Header=BB4_83 Depth=1
	s_bcnt1_i32_b64 vcc_lo, s[66:67]
	v_mov_b32_e32 v2, vcc_lo
	v_mov_b32_e32 v3, v36
	ds_add_u64 v0, v[2:3]
	s_trap 2
.LBB4_158:                              ;   in Loop: Header=BB4_83 Depth=1
	s_or_b64 exec, exec, s[42:43]
	s_trap 2
	ds_read_b64 v[2:3], v0
	v_add_co_u32_e32 v28, vcc, v28, v30
	v_addc_co_u32_e32 v29, vcc, 0, v29, vcc
	s_waitcnt lgkmcnt(0)
	v_cmp_lt_u64_e32 vcc, v[2:3], v[28:29]
	s_and_saveexec_b64 s[42:43], vcc
	s_cbranch_execz .LBB4_186
; %bb.159:                              ;   in Loop: Header=BB4_83 Depth=1
	s_mov_b32 s76, 0
	s_mov_b64 s[66:67], 0
                                        ; implicit-def: $sgpr68_sgpr69
                                        ; implicit-def: $sgpr70_sgpr71
	s_branch .LBB4_161
.LBB4_160:                              ;   in Loop: Header=BB4_161 Depth=2
	s_or_b64 exec, exec, s[74:75]
	s_and_b64 vcc, exec, vcc
	s_or_b64 s[66:67], vcc, s[66:67]
	s_andn2_b64 vcc, s[68:69], exec
	s_and_b64 s[68:69], s[70:71], exec
	s_or_b64 s[68:69], vcc, s[68:69]
	s_andn2_b64 exec, exec, s[66:67]
	s_cbranch_execz .LBB4_184
.LBB4_161:                              ;   Parent Loop BB4_83 Depth=1
                                        ; =>  This Inner Loop Header: Depth=2
	s_add_i32 s76, s76, 1
	s_cmpk_lg_i32 s76, 0x2710
	s_cselect_b64 s[72:73], -1, 0
	s_and_b64 vcc, exec, s[72:73]
                                        ; implicit-def: $sgpr74_sgpr75
	s_cbranch_vccnz .LBB4_163
; %bb.162:                              ;   in Loop: Header=BB4_161 Depth=2
	s_trap 2
	ds_read_b64 v[2:3], v0
	s_andn2_b64 s[72:73], s[72:73], exec
	s_mov_b32 s76, 0
	s_mov_b64 s[74:75], -1
	s_waitcnt lgkmcnt(0)
	flat_load_dword v1, v[2:3] glc
	s_waitcnt vmcnt(0) lgkmcnt(0)
	buffer_invl2
	buffer_wbinvl1_vol
	v_cmp_eq_u32_e32 vcc, 0, v1
	s_and_b64 vcc, vcc, exec
	s_or_b64 s[72:73], s[72:73], vcc
.LBB4_163:                              ;   in Loop: Header=BB4_161 Depth=2
	s_andn2_b64 s[70:71], s[70:71], exec
	s_and_b64 s[74:75], s[74:75], exec
	s_mov_b64 vcc, -1
	s_or_b64 s[70:71], s[70:71], s[74:75]
	s_and_saveexec_b64 s[74:75], s[72:73]
	s_cbranch_execz .LBB4_160
; %bb.164:                              ;   in Loop: Header=BB4_161 Depth=2
	s_sleep 1
	s_trap 2
	ds_read_b64 v[2:3], v0
	s_andn2_b64 s[70:71], s[70:71], exec
	s_waitcnt lgkmcnt(0)
	v_cmp_ge_u64_e32 vcc, v[2:3], v[28:29]
	s_orn2_b64 vcc, vcc, exec
	s_branch .LBB4_160
.LBB4_165:                              ;   in Loop: Header=BB4_83 Depth=1
	s_or_b64 exec, exec, s[64:65]
	s_and_saveexec_b64 vcc, s[66:67]
	s_xor_b64 vcc, exec, vcc
	s_cbranch_execz .LBB4_167
; %bb.166:                              ;   in Loop: Header=BB4_83 Depth=1
	ds_write_b32 v0, v56
	s_trap 2
.LBB4_167:                              ;   in Loop: Header=BB4_83 Depth=1
	s_or_b64 exec, exec, s[42:43]
	;;#ASMSTART
	s_wakeup
	;;#ASMEND
.LBB4_168:                              ;   in Loop: Header=BB4_83 Depth=1
	s_or_b64 exec, exec, s[40:41]
.LBB4_169:                              ;   in Loop: Header=BB4_83 Depth=1
	s_andn2_saveexec_b64 vcc, s[38:39]
	s_cbranch_execz .LBB4_171
; %bb.170:                              ;   in Loop: Header=BB4_83 Depth=1
	s_waitcnt vmcnt(0) lgkmcnt(0)
	buffer_wbinvl1_vol
	s_barrier
.LBB4_171:                              ;   in Loop: Header=BB4_83 Depth=1
	s_or_b64 exec, exec, vcc
.LBB4_172:                              ;   in Loop: Header=BB4_83 Depth=1
	s_or_b64 exec, exec, s[36:37]
	s_trap 2
	ds_read_b32 v1, v0
	v_and_b32_e32 v2, 0x4000, v46
	v_cmp_ne_u32_e32 vcc, 0, v2
	s_xor_b64 s[36:37], s[12:13], -1
	s_and_b64 vcc, s[36:37], vcc
	s_and_saveexec_b64 s[36:37], vcc
	s_cbranch_execz .LBB4_210
; %bb.173:                              ;   in Loop: Header=BB4_83 Depth=1
	s_and_saveexec_b64 vcc, s[52:53]
	s_xor_b64 s[38:39], exec, vcc
	s_cbranch_execz .LBB4_207
; %bb.174:                              ;   in Loop: Header=BB4_83 Depth=1
	s_and_saveexec_b64 s[40:41], s[20:21]
	s_cbranch_execz .LBB4_206
; %bb.175:                              ;   in Loop: Header=BB4_83 Depth=1
	s_mov_b64 s[64:65], exec
	v_mbcnt_lo_u32_b32 v2, s64, 0
	v_mbcnt_hi_u32_b32 v2, s65, v2
	v_cmp_eq_u32_e32 vcc, 0, v2
	s_waitcnt vmcnt(0) lgkmcnt(0)
	buffer_wbinvl1_vol
	s_and_saveexec_b64 s[42:43], vcc
	s_cbranch_execz .LBB4_177
; %bb.176:                              ;   in Loop: Header=BB4_83 Depth=1
	s_bcnt1_i32_b64 vcc_lo, s[64:65]
	v_mov_b32_e32 v2, vcc_lo
	v_mov_b32_e32 v3, v36
	ds_add_u64 v0, v[2:3]
	s_trap 2
.LBB4_177:                              ;   in Loop: Header=BB4_83 Depth=1
	s_or_b64 exec, exec, s[42:43]
	s_trap 2
	ds_read_b64 v[2:3], v0
	v_add_co_u32_e32 v28, vcc, v28, v30
	v_addc_co_u32_e32 v29, vcc, 0, v29, vcc
	s_waitcnt lgkmcnt(0)
	v_cmp_lt_u64_e32 vcc, v[2:3], v[28:29]
	s_and_saveexec_b64 s[42:43], vcc
	s_cbranch_execz .LBB4_205
; %bb.178:                              ;   in Loop: Header=BB4_83 Depth=1
	s_mov_b32 s74, 0
	s_mov_b64 s[64:65], 0
                                        ; implicit-def: $sgpr66_sgpr67
                                        ; implicit-def: $sgpr68_sgpr69
	s_branch .LBB4_180
.LBB4_179:                              ;   in Loop: Header=BB4_180 Depth=2
	s_or_b64 exec, exec, s[72:73]
	s_and_b64 vcc, exec, vcc
	s_or_b64 s[64:65], vcc, s[64:65]
	s_andn2_b64 vcc, s[66:67], exec
	s_and_b64 s[66:67], s[68:69], exec
	s_or_b64 s[66:67], vcc, s[66:67]
	s_andn2_b64 exec, exec, s[64:65]
	s_cbranch_execz .LBB4_203
.LBB4_180:                              ;   Parent Loop BB4_83 Depth=1
                                        ; =>  This Inner Loop Header: Depth=2
	s_add_i32 s74, s74, 1
	s_cmpk_lg_i32 s74, 0x2710
	s_cselect_b64 s[70:71], -1, 0
	s_and_b64 vcc, exec, s[70:71]
                                        ; implicit-def: $sgpr72_sgpr73
	s_cbranch_vccnz .LBB4_182
; %bb.181:                              ;   in Loop: Header=BB4_180 Depth=2
	s_trap 2
	ds_read_b64 v[2:3], v0
	s_andn2_b64 s[70:71], s[70:71], exec
	s_mov_b32 s74, 0
	s_mov_b64 s[72:73], -1
	s_waitcnt lgkmcnt(0)
	flat_load_dword v2, v[2:3] glc
	s_waitcnt vmcnt(0) lgkmcnt(0)
	buffer_invl2
	buffer_wbinvl1_vol
	v_cmp_eq_u32_e32 vcc, 0, v2
	s_and_b64 vcc, vcc, exec
	s_or_b64 s[70:71], s[70:71], vcc
.LBB4_182:                              ;   in Loop: Header=BB4_180 Depth=2
	s_andn2_b64 s[68:69], s[68:69], exec
	s_and_b64 s[72:73], s[72:73], exec
	s_mov_b64 vcc, -1
	s_or_b64 s[68:69], s[68:69], s[72:73]
	s_and_saveexec_b64 s[72:73], s[70:71]
	s_cbranch_execz .LBB4_179
; %bb.183:                              ;   in Loop: Header=BB4_180 Depth=2
	s_sleep 1
	s_trap 2
	ds_read_b64 v[2:3], v0
	s_andn2_b64 s[68:69], s[68:69], exec
	s_waitcnt lgkmcnt(0)
	v_cmp_ge_u64_e32 vcc, v[2:3], v[28:29]
	s_orn2_b64 vcc, vcc, exec
	s_branch .LBB4_179
.LBB4_184:                              ;   in Loop: Header=BB4_83 Depth=1
	s_or_b64 exec, exec, s[66:67]
	s_and_saveexec_b64 vcc, s[68:69]
	s_xor_b64 vcc, exec, vcc
	s_cbranch_execz .LBB4_186
; %bb.185:                              ;   in Loop: Header=BB4_83 Depth=1
	ds_write_b32 v0, v56
	s_trap 2
.LBB4_186:                              ;   in Loop: Header=BB4_83 Depth=1
	s_or_b64 exec, exec, s[42:43]
	;;#ASMSTART
	s_wakeup
	;;#ASMEND
.LBB4_187:                              ;   in Loop: Header=BB4_83 Depth=1
	s_or_b64 exec, exec, s[40:41]
.LBB4_188:                              ;   in Loop: Header=BB4_83 Depth=1
	s_andn2_saveexec_b64 vcc, s[38:39]
	s_cbranch_execz .LBB4_190
; %bb.189:                              ;   in Loop: Header=BB4_83 Depth=1
	s_waitcnt vmcnt(0) lgkmcnt(0)
	buffer_wbinvl1_vol
	s_barrier
.LBB4_190:                              ;   in Loop: Header=BB4_83 Depth=1
	s_or_b64 exec, exec, vcc
.LBB4_191:                              ;   in Loop: Header=BB4_83 Depth=1
	s_or_b64 exec, exec, s[36:37]
	s_trap 2
	ds_read_b32 v1, v0
	v_and_b32_e32 v2, 0x4000, v46
	v_cmp_ne_u32_e32 vcc, 0, v2
	s_xor_b64 s[36:37], s[12:13], -1
	s_and_b64 vcc, s[36:37], vcc
	s_and_saveexec_b64 s[36:37], vcc
	s_cbranch_execz .LBB4_295
; %bb.192:                              ;   in Loop: Header=BB4_83 Depth=1
	s_and_saveexec_b64 vcc, s[52:53]
	s_xor_b64 s[38:39], exec, vcc
	s_cbranch_execz .LBB4_292
; %bb.193:                              ;   in Loop: Header=BB4_83 Depth=1
	s_and_saveexec_b64 s[40:41], s[20:21]
	s_cbranch_execz .LBB4_291
; %bb.194:                              ;   in Loop: Header=BB4_83 Depth=1
	s_mov_b64 s[66:67], exec
	v_mbcnt_lo_u32_b32 v2, s66, 0
	v_mbcnt_hi_u32_b32 v2, s67, v2
	v_cmp_eq_u32_e32 vcc, 0, v2
	s_waitcnt vmcnt(0) lgkmcnt(0)
	buffer_wbinvl1_vol
	s_and_saveexec_b64 s[42:43], vcc
	s_cbranch_execz .LBB4_196
; %bb.195:                              ;   in Loop: Header=BB4_83 Depth=1
	s_bcnt1_i32_b64 vcc_lo, s[66:67]
	v_mov_b32_e32 v2, vcc_lo
	v_mov_b32_e32 v3, v36
	ds_add_u64 v0, v[2:3]
	s_trap 2
.LBB4_196:                              ;   in Loop: Header=BB4_83 Depth=1
	s_or_b64 exec, exec, s[42:43]
	s_trap 2
	ds_read_b64 v[2:3], v0
	v_add_co_u32_e32 v28, vcc, v28, v30
	v_addc_co_u32_e32 v29, vcc, 0, v29, vcc
	s_waitcnt lgkmcnt(0)
	v_cmp_lt_u64_e32 vcc, v[2:3], v[28:29]
	s_and_saveexec_b64 s[42:43], vcc
	s_cbranch_execz .LBB4_290
; %bb.197:                              ;   in Loop: Header=BB4_83 Depth=1
	s_mov_b32 s76, 0
	s_mov_b64 s[66:67], 0
                                        ; implicit-def: $sgpr68_sgpr69
                                        ; implicit-def: $sgpr70_sgpr71
	s_branch .LBB4_199
.LBB4_198:                              ;   in Loop: Header=BB4_199 Depth=2
	s_or_b64 exec, exec, s[74:75]
	s_and_b64 vcc, exec, vcc
	s_or_b64 s[66:67], vcc, s[66:67]
	s_andn2_b64 vcc, s[68:69], exec
	s_and_b64 s[68:69], s[70:71], exec
	s_or_b64 s[68:69], vcc, s[68:69]
	s_andn2_b64 exec, exec, s[66:67]
	s_cbranch_execz .LBB4_288
.LBB4_199:                              ;   Parent Loop BB4_83 Depth=1
                                        ; =>  This Inner Loop Header: Depth=2
	s_add_i32 s76, s76, 1
	s_cmpk_lg_i32 s76, 0x2710
	s_cselect_b64 s[72:73], -1, 0
	s_and_b64 vcc, exec, s[72:73]
                                        ; implicit-def: $sgpr74_sgpr75
	s_cbranch_vccnz .LBB4_201
; %bb.200:                              ;   in Loop: Header=BB4_199 Depth=2
	s_trap 2
	ds_read_b64 v[2:3], v0
	s_andn2_b64 s[72:73], s[72:73], exec
	s_mov_b32 s76, 0
	s_mov_b64 s[74:75], -1
	s_waitcnt lgkmcnt(0)
	flat_load_dword v2, v[2:3] glc
	s_waitcnt vmcnt(0) lgkmcnt(0)
	buffer_invl2
	buffer_wbinvl1_vol
	v_cmp_eq_u32_e32 vcc, 0, v2
	s_and_b64 vcc, vcc, exec
	s_or_b64 s[72:73], s[72:73], vcc
.LBB4_201:                              ;   in Loop: Header=BB4_199 Depth=2
	s_andn2_b64 s[70:71], s[70:71], exec
	s_and_b64 s[74:75], s[74:75], exec
	s_mov_b64 vcc, -1
	s_or_b64 s[70:71], s[70:71], s[74:75]
	s_and_saveexec_b64 s[74:75], s[72:73]
	s_cbranch_execz .LBB4_198
; %bb.202:                              ;   in Loop: Header=BB4_199 Depth=2
	s_sleep 1
	s_trap 2
	ds_read_b64 v[2:3], v0
	s_andn2_b64 s[70:71], s[70:71], exec
	s_waitcnt lgkmcnt(0)
	v_cmp_ge_u64_e32 vcc, v[2:3], v[28:29]
	s_orn2_b64 vcc, vcc, exec
	s_branch .LBB4_198
.LBB4_203:                              ;   in Loop: Header=BB4_83 Depth=1
	s_or_b64 exec, exec, s[64:65]
	s_and_saveexec_b64 vcc, s[66:67]
	s_xor_b64 vcc, exec, vcc
	s_cbranch_execz .LBB4_205
; %bb.204:                              ;   in Loop: Header=BB4_83 Depth=1
	ds_write_b32 v0, v56
	s_trap 2
.LBB4_205:                              ;   in Loop: Header=BB4_83 Depth=1
	s_or_b64 exec, exec, s[42:43]
	;;#ASMSTART
	s_wakeup
	;;#ASMEND
.LBB4_206:                              ;   in Loop: Header=BB4_83 Depth=1
	s_or_b64 exec, exec, s[40:41]
.LBB4_207:                              ;   in Loop: Header=BB4_83 Depth=1
	s_andn2_saveexec_b64 vcc, s[38:39]
	s_cbranch_execz .LBB4_209
; %bb.208:                              ;   in Loop: Header=BB4_83 Depth=1
	s_waitcnt vmcnt(0) lgkmcnt(0)
	buffer_wbinvl1_vol
	s_barrier
.LBB4_209:                              ;   in Loop: Header=BB4_83 Depth=1
	s_or_b64 exec, exec, vcc
.LBB4_210:                              ;   in Loop: Header=BB4_83 Depth=1
	s_or_b64 exec, exec, s[36:37]
	s_trap 2
	ds_read_b64 v[2:3], v0
	s_mov_b64 s[36:37], 0
	s_waitcnt lgkmcnt(0)
	v_readfirstlane_b32 vcc_lo, v2
	v_readfirstlane_b32 vcc_hi, v3
	s_cmp_eq_u64 vcc, 0
	s_cselect_b64 vcc, -1, 0
	s_or_b64 vcc, vcc, vcc
	s_and_b64 vcc, exec, vcc
	s_cbranch_vccnz .LBB4_244
; %bb.211:                              ;   in Loop: Header=BB4_83 Depth=1
	s_trap 2
	ds_read_b64 v[2:3], v0
	v_cmp_eq_u32_e64 s[36:37], 0, v1
	v_cndmask_b32_e64 v37, 0, v42, s[36:37]
	s_waitcnt lgkmcnt(0)
	v_cmp_ne_u64_e32 vcc, 0, v[2:3]
	s_cbranch_vccz .LBB4_249
; %bb.212:                              ;   in Loop: Header=BB4_83 Depth=1
	s_mov_b64 s[36:37], -1
	s_and_saveexec_b64 s[38:39], s[22:23]
	s_cbranch_execz .LBB4_214
; %bb.213:                              ;   in Loop: Header=BB4_83 Depth=1
	ds_read_b32 v1, v0 offset:720
	s_waitcnt lgkmcnt(0)
	v_and_b32_e32 v1, 15, v1
	v_cmp_eq_u32_e32 vcc, 0, v1
	s_orn2_b64 s[36:37], vcc, exec
.LBB4_214:                              ;   in Loop: Header=BB4_83 Depth=1
	s_or_b64 exec, exec, s[38:39]
	s_and_saveexec_b64 s[38:39], s[24:25]
	s_cbranch_execz .LBB4_216
; %bb.215:                              ;   in Loop: Header=BB4_83 Depth=1
	ds_read_b32 v1, v0 offset:784
	s_waitcnt lgkmcnt(0)
	v_and_b32_e32 v1, 15, v1
	v_cmp_eq_u32_e32 vcc, 0, v1
	s_and_b64 vcc, s[36:37], vcc
	s_andn2_b64 s[36:37], s[36:37], exec
	s_and_b64 vcc, vcc, exec
	s_or_b64 s[36:37], s[36:37], vcc
.LBB4_216:                              ;   in Loop: Header=BB4_83 Depth=1
	s_or_b64 exec, exec, s[38:39]
	s_xor_b64 vcc, s[36:37], -1
	v_cndmask_b32_e64 v1, 0, 1, vcc
	;;#ASMSTART
	;;#ASMEND
	s_mov_b64 s[38:39], -1
	v_cmp_ne_u32_e32 vcc, 0, v1
	v_mov_b32_e32 v1, 0
	v_mov_b32_e32 v10, v37
	;; [unrolled: 1-line block ×3, first 2 shown]
	s_cbranch_vccnz .LBB4_232
; %bb.217:                              ;   in Loop: Header=BB4_83 Depth=1
	v_ashrrev_i32_e32 v1, 31, v37
	v_lshrrev_b32_e32 v1, 22, v1
	v_add_u32_e32 v1, v37, v1
	v_and_b32_e32 v55, 0xfffffc00, v1
	v_accvgpr_read_b32 v2, a10
	v_sub_u32_e32 v39, v37, v55
	v_sub_u32_e32 v31, v37, v2
	v_ashrrev_i32_e32 v2, 10, v1
	v_cmp_lt_i32_e64 s[36:37], 15, v39
	v_accvgpr_read_b32 v1, a13
	v_addc_co_u32_e64 v38, vcc, v2, v1, s[36:37]
	v_cmp_lt_i32_e32 vcc, 15, v31
	v_accvgpr_read_b32 v3, a11
	s_and_saveexec_b64 s[64:65], vcc
	s_cbranch_execz .LBB4_223
; %bb.218:                              ;   in Loop: Header=BB4_83 Depth=1
	s_trap 2
	ds_read_b64 v[2:3], v0
	ds_read_b128 v[12:15], v0
	v_accvgpr_read_b32 v51, a11
	v_accvgpr_read_b32 v50, a10
	s_mov_b64 s[66:67], 0
	s_waitcnt lgkmcnt(0)
	v_add_co_u32_e32 v44, vcc, v2, v50
	v_addc_co_u32_e32 v45, vcc, v3, v51, vcc
	v_add_co_u32_e32 v2, vcc, v12, v50
	v_addc_co_u32_e32 v1, vcc, v13, v51, vcc
	;; [unrolled: 2-line block ×3, first 2 shown]
.LBB4_219:                              ;   Parent Loop BB4_83 Depth=1
                                        ; =>  This Loop Header: Depth=2
                                        ;       Child Loop BB4_220 Depth 3
	global_load_dwordx4 v[12:15], v[44:45], off glc slc
	s_mov_b64 s[70:71], -1
	s_mov_b64 s[68:69], 0
	s_waitcnt vmcnt(0)
.LBB4_220:                              ;   Parent Loop BB4_83 Depth=1
                                        ;     Parent Loop BB4_219 Depth=2
                                        ; =>    This Inner Loop Header: Depth=3
	s_cmp_eq_u32 s68, 0
	s_cselect_b64 s[38:39], -1, 0
	s_cmp_eq_u32 s68, 1
	s_cselect_b64 s[42:43], -1, 0
	v_cndmask_b32_e64 v20, 0, 1, s[70:71]
	v_cndmask_b32_e64 v50, v2, v10, s[42:43]
	v_cmp_ne_u32_e64 s[40:41], 1, v20
	v_cndmask_b32_e64 v51, v1, v3, s[42:43]
	v_add_co_u32_e32 v20, vcc, 0x400, v50
	global_store_dwordx4 v[50:51], v[12:15], off glc slc
	v_addc_co_u32_e32 v50, vcc, 0, v51, vcc
	s_mov_b64 s[70:71], 0
	s_mov_b64 s[68:69], 1
	v_cndmask_b32_e64 v10, v10, v20, s[42:43]
	s_and_b64 vcc, exec, s[40:41]
	v_cndmask_b32_e64 v3, v3, v50, s[42:43]
	v_cndmask_b32_e64 v1, v1, v50, s[38:39]
	;; [unrolled: 1-line block ×3, first 2 shown]
	s_cbranch_vccz .LBB4_220
; %bb.221:                              ;   in Loop: Header=BB4_219 Depth=2
	v_add_co_u32_e32 v2, vcc, v2, v54
	v_addc_co_u32_e32 v1, vcc, v1, v33, vcc
	v_add_co_u32_e32 v10, vcc, v10, v54
	v_addc_co_u32_e32 v3, vcc, v3, v33, vcc
	;; [unrolled: 2-line block ×3, first 2 shown]
	v_sub_u32_e32 v31, v31, v57
	v_cmp_gt_i32_e32 vcc, 16, v31
	s_or_b64 s[66:67], vcc, s[66:67]
	v_sub_u32_e32 v38, v38, v30
	s_andn2_b64 exec, exec, s[66:67]
	s_cbranch_execnz .LBB4_219
; %bb.222:                              ;   in Loop: Header=BB4_83 Depth=1
	s_or_b64 exec, exec, s[66:67]
.LBB4_223:                              ;   in Loop: Header=BB4_83 Depth=1
	s_or_b64 exec, exec, s[64:65]
	v_and_b32_e32 v2, 15, v37
	v_cndmask_b32_e64 v62, v39, v2, s[36:37]
	v_cmp_ne_u32_e32 vcc, 0, v62
	s_mov_b64 s[38:39], 0
	v_mov_b32_e32 v1, 0
                                        ; implicit-def: $vgpr10
                                        ; implicit-def: $vgpr43
	s_and_saveexec_b64 s[64:65], vcc
	s_cbranch_execz .LBB4_231
; %bb.224:                              ;   in Loop: Header=BB4_83 Depth=1
	v_sub_u32_e32 v1, v39, v2
	v_cndmask_b32_e64 v1, 0, v1, s[36:37]
	v_cmp_lt_i32_e32 vcc, 0, v38
	v_add_u32_e32 v43, v1, v55
	v_cndmask_b32_e32 v1, 0, v30, vcc
	v_sub_u32_e32 v1, v1, v38
	v_accvgpr_read_b32 v2, a12
	v_lshl_add_u32 v1, v1, 6, v2
	v_ashrrev_i32_e32 v2, 31, v1
	v_lshrrev_b32_e32 v2, 26, v2
	v_add_u32_e32 v2, v1, v2
	v_ashrrev_i32_e32 v3, 6, v2
	v_and_b32_e32 v2, 0xffffffc0, v2
	v_sub_u32_e32 v55, v1, v2
	v_ashrrev_i32_e32 v2, 31, v62
	v_lshrrev_b32_e32 v2, 22, v2
	v_add_u32_e32 v2, v62, v2
	v_and_b32_e32 v38, 0xfffffc00, v2
	v_lshlrev_b32_e32 v1, 4, v55
	v_sub_u32_e32 v39, v62, v38
	v_lshl_add_u32 v1, v3, 10, v1
	v_ashrrev_i32_e32 v10, 10, v2
	v_cmp_lt_i32_e64 s[36:37], 15, v39
	v_sub_u32_e32 v31, v62, v1
	v_addc_co_u32_e64 v2, vcc, 0, v10, s[36:37]
	v_sub_u32_e32 v56, v2, v3
	v_cmp_lt_i32_e32 vcc, 15, v31
	s_and_saveexec_b64 s[66:67], vcc
	s_cbranch_execz .LBB4_230
; %bb.225:                              ;   in Loop: Header=BB4_83 Depth=1
	s_trap 2
	ds_read_b64 v[2:3], v0
	ds_read_b128 v[12:15], v0
	v_add_u32_e32 v10, v1, v43
	v_ashrrev_i32_e32 v20, 31, v10
	s_mov_b64 s[68:69], 0
	s_waitcnt lgkmcnt(0)
	v_add_co_u32_e32 v44, vcc, v2, v10
	v_addc_co_u32_e32 v45, vcc, v3, v20, vcc
	v_add_co_u32_e32 v2, vcc, v12, v10
	v_addc_co_u32_e32 v1, vcc, v13, v20, vcc
	;; [unrolled: 2-line block ×3, first 2 shown]
.LBB4_226:                              ;   Parent Loop BB4_83 Depth=1
                                        ; =>  This Loop Header: Depth=2
                                        ;       Child Loop BB4_227 Depth 3
	global_load_dwordx4 v[12:15], v[44:45], off glc slc
	s_mov_b64 s[72:73], -1
	s_mov_b64 s[70:71], 0
	s_waitcnt vmcnt(0)
.LBB4_227:                              ;   Parent Loop BB4_83 Depth=1
                                        ;     Parent Loop BB4_226 Depth=2
                                        ; =>    This Inner Loop Header: Depth=3
	s_cmp_eq_u32 s70, 0
	s_cselect_b64 s[38:39], -1, 0
	s_cmp_eq_u32 s70, 1
	s_cselect_b64 s[42:43], -1, 0
	v_cndmask_b32_e64 v20, 0, 1, s[72:73]
	v_cndmask_b32_e64 v50, v2, v10, s[42:43]
	v_cmp_ne_u32_e64 s[40:41], 1, v20
	v_cndmask_b32_e64 v51, v1, v3, s[42:43]
	v_add_co_u32_e32 v20, vcc, 0x400, v50
	global_store_dwordx4 v[50:51], v[12:15], off glc slc
	v_addc_co_u32_e32 v50, vcc, 0, v51, vcc
	s_mov_b64 s[72:73], 0
	s_mov_b64 s[70:71], 1
	v_cndmask_b32_e64 v10, v10, v20, s[42:43]
	s_and_b64 vcc, exec, s[40:41]
	v_cndmask_b32_e64 v3, v3, v50, s[42:43]
	v_cndmask_b32_e64 v1, v1, v50, s[38:39]
	;; [unrolled: 1-line block ×3, first 2 shown]
	s_cbranch_vccz .LBB4_227
; %bb.228:                              ;   in Loop: Header=BB4_226 Depth=2
	v_add_co_u32_e32 v2, vcc, v2, v54
	v_addc_co_u32_e32 v1, vcc, v1, v33, vcc
	v_add_co_u32_e32 v10, vcc, v10, v54
	v_addc_co_u32_e32 v3, vcc, v3, v33, vcc
	;; [unrolled: 2-line block ×3, first 2 shown]
	v_sub_u32_e32 v31, v31, v57
	v_cmp_gt_i32_e32 vcc, 16, v31
	s_or_b64 s[68:69], vcc, s[68:69]
	v_sub_u32_e32 v56, v56, v30
	s_andn2_b64 exec, exec, s[68:69]
	s_cbranch_execnz .LBB4_226
; %bb.229:                              ;   in Loop: Header=BB4_83 Depth=1
	s_or_b64 exec, exec, s[68:69]
.LBB4_230:                              ;   in Loop: Header=BB4_83 Depth=1
	s_or_b64 exec, exec, s[66:67]
	v_and_b32_e32 v2, 15, v62
	v_cmp_lt_i32_e32 vcc, 0, v56
	v_sub_u32_e32 v1, v39, v2
	v_cndmask_b32_e64 v10, v39, v2, s[36:37]
	v_cndmask_b32_e32 v2, 0, v30, vcc
	v_cndmask_b32_e64 v1, 0, v1, s[36:37]
	v_sub_u32_e32 v2, v2, v56
	v_cmp_ne_u32_e32 vcc, 0, v10
	v_add3_u32 v1, v38, v43, v1
	v_lshl_add_u32 v43, v2, 6, v55
	s_and_b64 s[38:39], vcc, exec
	v_mov_b32_e32 v56, 1
.LBB4_231:                              ;   in Loop: Header=BB4_83 Depth=1
	s_or_b64 exec, exec, s[64:65]
.LBB4_232:                              ;   in Loop: Header=BB4_83 Depth=1
	s_and_saveexec_b64 s[40:41], s[38:39]
	s_cbranch_execz .LBB4_243
; %bb.233:                              ;   in Loop: Header=BB4_83 Depth=1
	v_ashrrev_i32_e32 v2, 31, v43
	v_ashrrev_i32_e32 v3, 31, v10
	v_lshrrev_b32_e32 v2, 26, v2
	v_lshrrev_b32_e32 v3, 23, v3
	v_add_u32_e32 v2, v43, v2
	v_add_u32_e32 v3, v10, v3
	v_ashrrev_i32_e32 v44, 6, v2
	v_ashrrev_i32_e32 v62, 9, v3
	v_sub_u32_e32 v45, v62, v44
	v_cmp_lt_i32_e32 vcc, 0, v45
	s_and_saveexec_b64 s[36:37], vcc
	s_cbranch_execz .LBB4_237
; %bb.234:                              ;   in Loop: Header=BB4_83 Depth=1
	s_trap 2
	ds_read_b64 v[38:39], v0
	ds_read_b128 v[12:15], v0
	v_and_b32_e32 v2, 0xffffffc0, v2
	v_sub_u32_e32 v2, v43, v2
	v_lshlrev_b32_e32 v3, 9, v44
	v_add3_u32 v20, v1, v2, v3
	v_ashrrev_i32_e32 v31, 31, v20
	s_waitcnt lgkmcnt(0)
	v_add_co_u32_e32 v2, vcc, v12, v20
	v_addc_co_u32_e32 v3, vcc, v13, v31, vcc
	v_add_co_u32_e32 v12, vcc, v14, v20
	v_addc_co_u32_e32 v13, vcc, v15, v31, vcc
	;; [unrolled: 2-line block ×4, first 2 shown]
	s_mov_b64 s[38:39], 0
.LBB4_235:                              ;   Parent Loop BB4_83 Depth=1
                                        ; =>  This Inner Loop Header: Depth=2
	v_add_co_u32_e32 v38, vcc, 0xfffffe40, v14
	v_addc_co_u32_e32 v39, vcc, -1, v15, vcc
	v_add_co_u32_e32 v50, vcc, 0xfffffe80, v14
	v_addc_co_u32_e32 v51, vcc, -1, v15, vcc
	flat_load_ubyte v31, v[38:39] glc slc
	v_add_co_u32_e32 v38, vcc, 0xfffffec0, v14
	v_addc_co_u32_e32 v39, vcc, -1, v15, vcc
	flat_load_ubyte v52, v[50:51] glc slc
	v_add_co_u32_e32 v50, vcc, 0xffffff00, v14
	flat_load_ubyte v20, v[14:15] glc slc
	v_addc_co_u32_e32 v51, vcc, -1, v15, vcc
	flat_load_ubyte v53, v[38:39] glc slc
	v_add_co_u32_e32 v38, vcc, 0xffffff40, v14
	v_addc_co_u32_e32 v39, vcc, -1, v15, vcc
	flat_load_ubyte v55, v[50:51] glc slc
	v_add_co_u32_e32 v50, vcc, 0xffffff80, v14
	;; [unrolled: 3-line block ×3, first 2 shown]
	flat_load_ubyte v50, v[50:51] glc slc
	v_addc_co_u32_e32 v39, vcc, -1, v15, vcc
	flat_load_ubyte v38, v[38:39] glc slc
	v_sub_u32_e32 v45, v45, v30
	v_cmp_gt_i32_e32 vcc, 1, v45
	s_or_b64 s[38:39], vcc, s[38:39]
	v_add_co_u32_e32 v14, vcc, v14, v58
	v_addc_co_u32_e32 v15, vcc, v15, v59, vcc
	s_waitcnt vmcnt(0) lgkmcnt(0)
	flat_store_byte v[2:3], v20 offset:448 glc slc
	flat_store_byte v[2:3], v31 glc slc
	flat_store_byte v[2:3], v52 offset:64 glc slc
	flat_store_byte v[2:3], v53 offset:128 glc slc
	;; [unrolled: 1-line block ×6, first 2 shown]
	flat_store_byte v[12:13], v31 glc slc
	flat_store_byte v[12:13], v52 offset:64 glc slc
	flat_store_byte v[12:13], v53 offset:128 glc slc
	;; [unrolled: 1-line block ×7, first 2 shown]
	v_add_co_u32_e32 v2, vcc, v2, v58
	v_addc_co_u32_e32 v3, vcc, v3, v59, vcc
	v_add_co_u32_e32 v12, vcc, v12, v58
	v_addc_co_u32_e32 v13, vcc, v13, v59, vcc
	s_andn2_b64 exec, exec, s[38:39]
	s_cbranch_execnz .LBB4_235
; %bb.236:                              ;   in Loop: Header=BB4_83 Depth=1
	s_or_b64 exec, exec, s[38:39]
	v_accvgpr_read_b32 v53, a7
	v_accvgpr_read_b32 v52, a6
	v_mov_b32_e32 v56, 1
.LBB4_237:                              ;   in Loop: Header=BB4_83 Depth=1
	s_or_b64 exec, exec, s[36:37]
	v_lshlrev_b32_e32 v2, 9, v62
	v_cmp_ne_u32_e32 vcc, v10, v2
	s_and_b64 exec, exec, vcc
	s_cbranch_execz .LBB4_243
; %bb.238:                              ;   in Loop: Header=BB4_83 Depth=1
	v_lshlrev_b32_e32 v3, 6, v44
	v_sub_u32_e32 v3, v43, v3
	v_lshlrev_b32_e32 v12, 6, v45
	v_sub_u32_e32 v3, v3, v12
	v_add_u32_e32 v2, v2, v3
	v_sub_u32_e32 v14, v10, v2
	v_cmp_lt_i32_e32 vcc, 0, v14
	s_and_b64 exec, exec, vcc
	s_cbranch_execz .LBB4_243
; %bb.239:                              ;   in Loop: Header=BB4_83 Depth=1
	s_trap 2
	ds_read_b64 v[12:13], v0
	ds_read_b128 v[50:53], v0
	v_add_u32_e32 v3, v2, v1
	v_ashrrev_i32_e32 v15, 31, v3
	s_mov_b64 s[42:43], 0
	s_waitcnt lgkmcnt(0)
	v_add_co_u32_e32 v12, vcc, v12, v3
	v_addc_co_u32_e32 v13, vcc, v13, v15, vcc
	v_add_co_u32_e32 v2, vcc, v50, v3
	v_addc_co_u32_e32 v1, vcc, v51, v15, vcc
	;; [unrolled: 2-line block ×3, first 2 shown]
	v_accvgpr_read_b32 v53, a7
	v_accvgpr_read_b32 v50, a8
	;; [unrolled: 1-line block ×3, first 2 shown]
.LBB4_240:                              ;   Parent Loop BB4_83 Depth=1
                                        ; =>  This Loop Header: Depth=2
                                        ;       Child Loop BB4_241 Depth 3
	flat_load_ubyte v15, v[12:13] glc slc
	s_mov_b64 s[64:65], -1
	s_mov_b64 s[66:67], 0
	s_waitcnt vmcnt(0)
.LBB4_241:                              ;   Parent Loop BB4_83 Depth=1
                                        ;     Parent Loop BB4_240 Depth=2
                                        ; =>    This Inner Loop Header: Depth=3
	s_cmp_eq_u32 s66, 1
	s_cselect_b64 vcc, -1, 0
	v_cndmask_b32_e32 v38, v2, v10, vcc
	v_cndmask_b32_e32 v39, v1, v3, vcc
	v_add_co_u32_e64 v20, s[36:37], 64, v38
	s_cmp_eq_u32 s66, 0
	v_addc_co_u32_e64 v31, s[36:37], 0, v39, s[36:37]
	s_cselect_b64 s[36:37], -1, 0
	s_and_b64 s[38:39], exec, s[64:65]
	s_mov_b64 s[66:67], 1
	s_mov_b64 s[64:65], 0
	v_cndmask_b32_e32 v3, v3, v31, vcc
	v_cndmask_b32_e32 v10, v10, v20, vcc
	v_cndmask_b32_e64 v1, v1, v31, s[36:37]
	v_cndmask_b32_e64 v2, v2, v20, s[36:37]
	s_mov_b64 vcc, s[38:39]
	s_waitcnt lgkmcnt(0)
	flat_store_byte v[38:39], v15 glc slc
	s_cbranch_vccnz .LBB4_241
; %bb.242:                              ;   in Loop: Header=BB4_240 Depth=2
	v_add_co_u32_e32 v2, vcc, v2, v50
	v_addc_co_u32_e32 v1, vcc, v1, v11, vcc
	v_add_co_u32_e32 v10, vcc, v10, v50
	v_addc_co_u32_e32 v3, vcc, v3, v11, vcc
	v_sub_u32_e32 v14, v14, v47
	v_cmp_gt_i32_e32 vcc, 1, v14
	s_or_b64 s[42:43], vcc, s[42:43]
	v_add_co_u32_e32 v12, vcc, v60, v12
	v_addc_co_u32_e32 v13, vcc, v61, v13, vcc
	s_andn2_b64 exec, exec, s[42:43]
	s_cbranch_execnz .LBB4_240
.LBB4_243:                              ;   in Loop: Header=BB4_83 Depth=1
	s_or_b64 exec, exec, s[40:41]
	s_branch .LBB4_276
.LBB4_244:                              ;   in Loop: Header=BB4_83 Depth=1
	s_and_saveexec_b64 s[38:39], s[14:15]
	s_cbranch_execnz .LBB4_277
.LBB4_245:                              ;   in Loop: Header=BB4_83 Depth=1
	s_or_b64 exec, exec, s[38:39]
                                        ; implicit-def: $vgpr1
	s_and_saveexec_b64 vcc, s[28:29]
	s_xor_b64 s[38:39], exec, vcc
	s_cbranch_execz .LBB4_381
.LBB4_246:                              ;   in Loop: Header=BB4_83 Depth=1
	v_and_b32_e32 v2, 16, v46
	v_cmp_ne_u32_e32 vcc, 0, v2
	v_and_b32_e32 v1, 16, v46
	s_and_b64 s[36:37], vcc, s[36:37]
	s_and_saveexec_b64 vcc, s[36:37]
	s_cbranch_execz .LBB4_248
; %bb.247:                              ;   in Loop: Header=BB4_83 Depth=1
	v_mov_b32_e32 v1, 1
	s_waitcnt vmcnt(0) lgkmcnt(0)
	buffer_wbinvl1_vol
.LBB4_248:                              ;   in Loop: Header=BB4_83 Depth=1
	s_or_b64 exec, exec, vcc
	s_andn2_saveexec_b64 s[36:37], s[38:39]
	s_cbranch_execz .LBB4_419
	s_branch .LBB4_382
.LBB4_249:                              ;   in Loop: Header=BB4_83 Depth=1
	s_cbranch_execz .LBB4_276
; %bb.250:                              ;   in Loop: Header=BB4_83 Depth=1
	s_mov_b64 s[36:37], -1
	s_and_saveexec_b64 s[38:39], s[22:23]
	s_cbranch_execz .LBB4_252
; %bb.251:                              ;   in Loop: Header=BB4_83 Depth=1
	ds_read_b32 v1, v0 offset:720
	s_waitcnt lgkmcnt(0)
	v_and_b32_e32 v1, 15, v1
	v_cmp_eq_u32_e32 vcc, 0, v1
	s_orn2_b64 s[36:37], vcc, exec
.LBB4_252:                              ;   in Loop: Header=BB4_83 Depth=1
	s_or_b64 exec, exec, s[38:39]
	s_and_saveexec_b64 s[38:39], s[26:27]
	s_cbranch_execz .LBB4_254
; %bb.253:                              ;   in Loop: Header=BB4_83 Depth=1
	ds_read_b32 v1, v0 offset:784
	s_waitcnt lgkmcnt(0)
	v_and_b32_e32 v1, 15, v1
	v_cmp_eq_u32_e32 vcc, 0, v1
	s_and_b64 vcc, s[36:37], vcc
	s_andn2_b64 s[36:37], s[36:37], exec
	s_and_b64 vcc, vcc, exec
	s_or_b64 s[36:37], s[36:37], vcc
.LBB4_254:                              ;   in Loop: Header=BB4_83 Depth=1
	s_or_b64 exec, exec, s[38:39]
	s_xor_b64 vcc, s[36:37], -1
	v_cndmask_b32_e64 v1, 0, 1, vcc
	s_mov_b64 s[40:41], -1
	;;#ASMSTART
	;;#ASMEND
	v_cmp_ne_u32_e32 vcc, 0, v1
	v_mov_b32_e32 v14, 0
	v_mov_b32_e32 v15, v37
	;; [unrolled: 1-line block ×3, first 2 shown]
	s_cbranch_vccnz .LBB4_266
; %bb.255:                              ;   in Loop: Header=BB4_83 Depth=1
	v_ashrrev_i32_e32 v1, 31, v37
	v_lshrrev_b32_e32 v1, 22, v1
	v_accvgpr_read_b32 v2, a10
	v_add_u32_e32 v1, v37, v1
	v_sub_u32_e32 v14, v37, v2
	v_ashrrev_i32_e32 v2, 10, v1
	v_and_b32_e32 v1, 0xfffffc00, v1
	v_accvgpr_read_b32 v3, a11
	v_sub_u32_e32 v38, v37, v1
	v_cmp_lt_i32_e32 vcc, 15, v38
	v_accvgpr_read_b32 v3, a13
	v_addc_co_u32_e64 v10, s[36:37], v2, v3, vcc
	v_cmp_lt_i32_e64 s[36:37], 15, v14
	s_and_saveexec_b64 s[38:39], s[36:37]
	s_cbranch_execz .LBB4_259
; %bb.256:                              ;   in Loop: Header=BB4_83 Depth=1
	s_trap 2
	ds_read_b64 v[2:3], v0
	v_accvgpr_read_b32 v13, a11
	s_mov_b64 s[40:41], 0
	v_accvgpr_read_b32 v12, a10
.LBB4_257:                              ;   Parent Loop BB4_83 Depth=1
                                        ; =>  This Inner Loop Header: Depth=2
	s_waitcnt lgkmcnt(0)
	v_add_co_u32_e64 v44, s[36:37], v2, v12
	v_addc_co_u32_e64 v45, s[36:37], v3, v13, s[36:37]
	global_load_dwordx4 v[50:53], v[44:45], off glc slc
	v_add_co_u32_e64 v12, s[36:37], v12, v25
	v_sub_u32_e32 v14, v14, v57
	v_addc_co_u32_e64 v13, s[36:37], v13, v18, s[36:37]
	v_cmp_gt_i32_e64 s[36:37], 16, v14
	v_sub_u32_e32 v10, v10, v30
	s_or_b64 s[40:41], s[36:37], s[40:41]
	s_waitcnt vmcnt(0)
	global_store_dwordx4 v[44:45], v[50:53], off glc slc
	s_andn2_b64 exec, exec, s[40:41]
	s_cbranch_execnz .LBB4_257
; %bb.258:                              ;   in Loop: Header=BB4_83 Depth=1
	s_or_b64 exec, exec, s[40:41]
	v_accvgpr_read_b32 v53, a7
	v_accvgpr_read_b32 v52, a6
.LBB4_259:                              ;   in Loop: Header=BB4_83 Depth=1
	s_or_b64 exec, exec, s[38:39]
	v_and_b32_e32 v2, 15, v37
	v_cndmask_b32_e32 v12, v38, v2, vcc
	v_cmp_ne_u32_e64 s[36:37], 0, v12
	s_mov_b64 s[40:41], 0
	v_mov_b32_e32 v14, 0
                                        ; implicit-def: $vgpr15
                                        ; implicit-def: $vgpr31
	s_and_saveexec_b64 s[38:39], s[36:37]
	s_cbranch_execz .LBB4_265
; %bb.260:                              ;   in Loop: Header=BB4_83 Depth=1
	v_sub_u32_e32 v2, v38, v2
	v_cndmask_b32_e32 v2, 0, v2, vcc
	v_cmp_lt_i32_e32 vcc, 0, v10
	v_add_u32_e32 v13, v2, v1
	v_cndmask_b32_e32 v1, 0, v30, vcc
	v_sub_u32_e32 v1, v1, v10
	v_accvgpr_read_b32 v2, a12
	v_lshl_add_u32 v1, v1, 6, v2
	v_ashrrev_i32_e32 v2, 31, v1
	v_lshrrev_b32_e32 v2, 26, v2
	v_add_u32_e32 v2, v1, v2
	v_ashrrev_i32_e32 v3, 6, v2
	v_and_b32_e32 v2, 0xffffffc0, v2
	v_sub_u32_e32 v31, v1, v2
	v_ashrrev_i32_e32 v2, 31, v12
	v_lshrrev_b32_e32 v2, 22, v2
	v_add_u32_e32 v2, v12, v2
	v_and_b32_e32 v14, 0xfffffc00, v2
	v_lshlrev_b32_e32 v1, 4, v31
	v_sub_u32_e32 v15, v12, v14
	v_lshl_add_u32 v1, v3, 10, v1
	v_ashrrev_i32_e32 v10, 10, v2
	v_cmp_lt_i32_e32 vcc, 15, v15
	v_sub_u32_e32 v39, v12, v1
	v_addc_co_u32_e64 v2, s[36:37], 0, v10, vcc
	v_sub_u32_e32 v38, v2, v3
	v_cmp_lt_i32_e64 s[36:37], 15, v39
	s_and_saveexec_b64 s[40:41], s[36:37]
	s_cbranch_execz .LBB4_264
; %bb.261:                              ;   in Loop: Header=BB4_83 Depth=1
	s_trap 2
	ds_read_b64 v[2:3], v0
	v_add_u32_e32 v10, v1, v13
	v_ashrrev_i32_e32 v1, 31, v10
	s_mov_b64 s[42:43], 0
.LBB4_262:                              ;   Parent Loop BB4_83 Depth=1
                                        ; =>  This Inner Loop Header: Depth=2
	s_waitcnt lgkmcnt(0)
	v_add_co_u32_e64 v44, s[36:37], v2, v10
	v_addc_co_u32_e64 v45, s[36:37], v3, v1, s[36:37]
	global_load_dwordx4 v[50:53], v[44:45], off glc slc
	v_add_co_u32_e64 v10, s[36:37], v10, v25
	v_sub_u32_e32 v39, v39, v57
	v_addc_co_u32_e64 v1, s[36:37], v1, v18, s[36:37]
	v_cmp_gt_i32_e64 s[36:37], 16, v39
	v_sub_u32_e32 v38, v38, v30
	s_or_b64 s[42:43], s[36:37], s[42:43]
	s_waitcnt vmcnt(0)
	global_store_dwordx4 v[44:45], v[50:53], off glc slc
	s_andn2_b64 exec, exec, s[42:43]
	s_cbranch_execnz .LBB4_262
; %bb.263:                              ;   in Loop: Header=BB4_83 Depth=1
	s_or_b64 exec, exec, s[42:43]
	v_accvgpr_read_b32 v53, a7
	v_accvgpr_read_b32 v52, a6
.LBB4_264:                              ;   in Loop: Header=BB4_83 Depth=1
	s_or_b64 exec, exec, s[40:41]
	v_and_b32_e32 v1, 15, v12
	v_sub_u32_e32 v2, v15, v1
	v_cndmask_b32_e32 v2, 0, v2, vcc
	v_cndmask_b32_e32 v15, v15, v1, vcc
	v_cmp_lt_i32_e32 vcc, 0, v38
	v_cndmask_b32_e32 v1, 0, v30, vcc
	v_sub_u32_e32 v1, v1, v38
	v_cmp_ne_u32_e32 vcc, 0, v15
	v_add3_u32 v14, v14, v13, v2
	v_lshl_add_u32 v31, v1, 6, v31
	s_and_b64 s[40:41], vcc, exec
.LBB4_265:                              ;   in Loop: Header=BB4_83 Depth=1
	s_or_b64 exec, exec, s[38:39]
.LBB4_266:                              ;   in Loop: Header=BB4_83 Depth=1
	s_and_saveexec_b64 s[36:37], s[40:41]
	s_cbranch_execz .LBB4_275
; %bb.267:                              ;   in Loop: Header=BB4_83 Depth=1
	v_ashrrev_i32_e32 v1, 31, v31
	v_ashrrev_i32_e32 v2, 31, v15
	v_lshrrev_b32_e32 v1, 26, v1
	v_lshrrev_b32_e32 v2, 23, v2
	v_add_u32_e32 v1, v31, v1
	v_add_u32_e32 v2, v15, v2
	v_ashrrev_i32_e32 v38, 6, v1
	v_ashrrev_i32_e32 v55, 9, v2
	v_sub_u32_e32 v39, v55, v38
	v_cmp_lt_i32_e32 vcc, 0, v39
	s_and_saveexec_b64 s[38:39], vcc
	s_cbranch_execz .LBB4_271
; %bb.268:                              ;   in Loop: Header=BB4_83 Depth=1
	s_trap 2
	ds_read_b64 v[2:3], v0
	v_and_b32_e32 v1, 0xffffffc0, v1
	v_sub_u32_e32 v1, v31, v1
	v_lshlrev_b32_e32 v10, 9, v38
	v_add3_u32 v10, v14, v1, v10
	v_ashrrev_i32_e32 v1, 31, v10
	s_mov_b64 s[40:41], 0
	s_waitcnt lgkmcnt(0)
	v_pk_mov_b32 v[12:13], v[2:3], v[2:3] op_sel:[0,1]
.LBB4_269:                              ;   Parent Loop BB4_83 Depth=1
                                        ; =>  This Inner Loop Header: Depth=2
	v_add_co_u32_e32 v50, vcc, v10, v12
	v_addc_co_u32_e32 v51, vcc, v1, v13, vcc
	flat_load_ubyte v20, v[50:51] glc slc
	flat_load_ubyte v52, v[50:51] offset:64 glc slc
	flat_load_ubyte v53, v[50:51] offset:128 glc slc
	;; [unrolled: 1-line block ×7, first 2 shown]
	v_add_co_u32_e32 v50, vcc, v10, v2
	v_addc_co_u32_e32 v51, vcc, v1, v3, vcc
	v_add_co_u32_e32 v12, vcc, v12, v58
	v_addc_co_u32_e32 v13, vcc, v13, v59, vcc
	v_add_co_u32_e32 v2, vcc, v2, v58
	v_sub_u32_e32 v39, v39, v30
	v_addc_co_u32_e32 v3, vcc, v3, v59, vcc
	v_cmp_gt_i32_e32 vcc, 1, v39
	s_or_b64 s[40:41], vcc, s[40:41]
	s_waitcnt vmcnt(0) lgkmcnt(0)
	flat_store_byte v[50:51], v20 glc slc
	flat_store_byte v[50:51], v52 offset:64 glc slc
	flat_store_byte v[50:51], v53 offset:128 glc slc
	flat_store_byte v[50:51], v43 offset:192 glc slc
	flat_store_byte v[50:51], v44 offset:256 glc slc
	flat_store_byte v[50:51], v45 offset:320 glc slc
	flat_store_byte v[50:51], v56 offset:384 glc slc
	flat_store_byte v[50:51], v62 offset:448 glc slc
	s_andn2_b64 exec, exec, s[40:41]
	s_cbranch_execnz .LBB4_269
; %bb.270:                              ;   in Loop: Header=BB4_83 Depth=1
	s_or_b64 exec, exec, s[40:41]
	v_accvgpr_read_b32 v53, a7
	v_accvgpr_read_b32 v52, a6
	v_mov_b32_e32 v56, 1
.LBB4_271:                              ;   in Loop: Header=BB4_83 Depth=1
	s_or_b64 exec, exec, s[38:39]
	v_lshlrev_b32_e32 v1, 9, v55
	v_cmp_ne_u32_e32 vcc, v15, v1
	s_and_b64 exec, exec, vcc
	s_cbranch_execz .LBB4_275
; %bb.272:                              ;   in Loop: Header=BB4_83 Depth=1
	v_lshlrev_b32_e32 v2, 6, v38
	v_sub_u32_e32 v2, v31, v2
	v_lshlrev_b32_e32 v3, 6, v39
	v_sub_u32_e32 v2, v2, v3
	v_add_u32_e32 v1, v1, v2
	v_sub_u32_e32 v12, v15, v1
	v_cmp_lt_i32_e32 vcc, 0, v12
	s_and_b64 exec, exec, vcc
	s_cbranch_execz .LBB4_275
; %bb.273:                              ;   in Loop: Header=BB4_83 Depth=1
	s_trap 2
	ds_read_b64 v[2:3], v0
	v_add_u32_e32 v10, v1, v14
	v_ashrrev_i32_e32 v1, 31, v10
	s_mov_b64 s[38:39], 0
.LBB4_274:                              ;   Parent Loop BB4_83 Depth=1
                                        ; =>  This Inner Loop Header: Depth=2
	s_waitcnt lgkmcnt(0)
	v_add_co_u32_e32 v14, vcc, v2, v10
	v_addc_co_u32_e32 v15, vcc, v3, v1, vcc
	flat_load_ubyte v13, v[14:15] glc slc
	v_add_co_u32_e32 v10, vcc, v10, v60
	v_sub_u32_e32 v12, v12, v47
	v_addc_co_u32_e32 v1, vcc, v1, v61, vcc
	v_cmp_gt_i32_e32 vcc, 1, v12
	s_or_b64 s[38:39], vcc, s[38:39]
	s_waitcnt vmcnt(0) lgkmcnt(0)
	flat_store_byte v[14:15], v13 glc slc
	s_andn2_b64 exec, exec, s[38:39]
	s_cbranch_execnz .LBB4_274
.LBB4_275:                              ;   in Loop: Header=BB4_83 Depth=1
	s_or_b64 exec, exec, s[36:37]
.LBB4_276:                              ;   in Loop: Header=BB4_83 Depth=1
	v_cmp_lt_i32_e64 s[36:37], 0, v37
	s_and_saveexec_b64 s[38:39], s[14:15]
	s_cbranch_execz .LBB4_245
.LBB4_277:                              ;   in Loop: Header=BB4_83 Depth=1
	s_and_saveexec_b64 vcc, s[52:53]
	s_xor_b64 s[40:41], exec, vcc
	s_cbranch_execz .LBB4_378
; %bb.278:                              ;   in Loop: Header=BB4_83 Depth=1
	s_and_saveexec_b64 s[42:43], s[20:21]
	s_cbranch_execz .LBB4_377
; %bb.279:                              ;   in Loop: Header=BB4_83 Depth=1
	s_mov_b64 s[66:67], exec
	v_mbcnt_lo_u32_b32 v1, s66, 0
	v_mbcnt_hi_u32_b32 v1, s67, v1
	v_cmp_eq_u32_e32 vcc, 0, v1
	s_waitcnt vmcnt(0) lgkmcnt(0)
	buffer_wbinvl1_vol
	s_and_saveexec_b64 s[64:65], vcc
	s_cbranch_execz .LBB4_281
; %bb.280:                              ;   in Loop: Header=BB4_83 Depth=1
	s_bcnt1_i32_b64 vcc_lo, s[66:67]
	v_mov_b32_e32 v2, vcc_lo
	v_mov_b32_e32 v3, v36
	ds_add_u64 v0, v[2:3]
	s_trap 2
.LBB4_281:                              ;   in Loop: Header=BB4_83 Depth=1
	s_or_b64 exec, exec, s[64:65]
	s_trap 2
	ds_read_b64 v[2:3], v0
	v_add_co_u32_e32 v28, vcc, v28, v30
	v_addc_co_u32_e32 v29, vcc, 0, v29, vcc
	s_waitcnt lgkmcnt(0)
	v_cmp_lt_u64_e32 vcc, v[2:3], v[28:29]
	s_and_saveexec_b64 s[64:65], vcc
	s_cbranch_execz .LBB4_376
; %bb.282:                              ;   in Loop: Header=BB4_83 Depth=1
	s_mov_b32 s76, 0
	s_mov_b64 s[66:67], 0
                                        ; implicit-def: $sgpr68_sgpr69
                                        ; implicit-def: $sgpr70_sgpr71
	s_branch .LBB4_284
.LBB4_283:                              ;   in Loop: Header=BB4_284 Depth=2
	s_or_b64 exec, exec, s[74:75]
	s_and_b64 vcc, exec, vcc
	s_or_b64 s[66:67], vcc, s[66:67]
	s_andn2_b64 vcc, s[68:69], exec
	s_and_b64 s[68:69], s[70:71], exec
	s_or_b64 s[68:69], vcc, s[68:69]
	s_andn2_b64 exec, exec, s[66:67]
	s_cbranch_execz .LBB4_374
.LBB4_284:                              ;   Parent Loop BB4_83 Depth=1
                                        ; =>  This Inner Loop Header: Depth=2
	s_add_i32 s76, s76, 1
	s_cmpk_lg_i32 s76, 0x2710
	s_cselect_b64 s[72:73], -1, 0
	s_and_b64 vcc, exec, s[72:73]
                                        ; implicit-def: $sgpr74_sgpr75
	s_cbranch_vccnz .LBB4_286
; %bb.285:                              ;   in Loop: Header=BB4_284 Depth=2
	s_trap 2
	ds_read_b64 v[2:3], v0
	s_andn2_b64 s[72:73], s[72:73], exec
	s_mov_b32 s76, 0
	s_mov_b64 s[74:75], -1
	s_waitcnt lgkmcnt(0)
	flat_load_dword v1, v[2:3] glc
	s_waitcnt vmcnt(0) lgkmcnt(0)
	buffer_invl2
	buffer_wbinvl1_vol
	v_cmp_eq_u32_e32 vcc, 0, v1
	s_and_b64 vcc, vcc, exec
	s_or_b64 s[72:73], s[72:73], vcc
.LBB4_286:                              ;   in Loop: Header=BB4_284 Depth=2
	s_andn2_b64 s[70:71], s[70:71], exec
	s_and_b64 s[74:75], s[74:75], exec
	s_mov_b64 vcc, -1
	s_or_b64 s[70:71], s[70:71], s[74:75]
	s_and_saveexec_b64 s[74:75], s[72:73]
	s_cbranch_execz .LBB4_283
; %bb.287:                              ;   in Loop: Header=BB4_284 Depth=2
	s_sleep 1
	s_trap 2
	ds_read_b64 v[2:3], v0
	s_andn2_b64 s[70:71], s[70:71], exec
	s_waitcnt lgkmcnt(0)
	v_cmp_ge_u64_e32 vcc, v[2:3], v[28:29]
	s_orn2_b64 vcc, vcc, exec
	s_branch .LBB4_283
.LBB4_288:                              ;   in Loop: Header=BB4_83 Depth=1
	s_or_b64 exec, exec, s[66:67]
	s_and_saveexec_b64 vcc, s[68:69]
	s_xor_b64 vcc, exec, vcc
	s_cbranch_execz .LBB4_290
; %bb.289:                              ;   in Loop: Header=BB4_83 Depth=1
	ds_write_b32 v0, v56
	s_trap 2
.LBB4_290:                              ;   in Loop: Header=BB4_83 Depth=1
	s_or_b64 exec, exec, s[42:43]
	;;#ASMSTART
	s_wakeup
	;;#ASMEND
.LBB4_291:                              ;   in Loop: Header=BB4_83 Depth=1
	s_or_b64 exec, exec, s[40:41]
.LBB4_292:                              ;   in Loop: Header=BB4_83 Depth=1
	s_andn2_saveexec_b64 vcc, s[38:39]
	s_cbranch_execz .LBB4_294
; %bb.293:                              ;   in Loop: Header=BB4_83 Depth=1
	s_waitcnt vmcnt(0) lgkmcnt(0)
	buffer_wbinvl1_vol
	s_barrier
.LBB4_294:                              ;   in Loop: Header=BB4_83 Depth=1
	s_or_b64 exec, exec, vcc
.LBB4_295:                              ;   in Loop: Header=BB4_83 Depth=1
	s_or_b64 exec, exec, s[36:37]
	s_trap 2
	ds_read_b64 v[2:3], v0
	s_mov_b64 s[36:37], 0
	s_waitcnt lgkmcnt(0)
	v_readfirstlane_b32 vcc_lo, v2
	v_readfirstlane_b32 vcc_hi, v3
	s_cmp_eq_u64 vcc, 0
	s_cselect_b64 vcc, -1, 0
	s_or_b64 vcc, vcc, vcc
	s_and_b64 vcc, exec, vcc
	s_cbranch_vccnz .LBB4_329
; %bb.296:                              ;   in Loop: Header=BB4_83 Depth=1
	s_trap 2
	ds_read_b64 v[2:3], v0
	v_cmp_eq_u32_e64 s[36:37], 0, v1
	v_cndmask_b32_e64 v37, 0, v42, s[36:37]
	s_waitcnt lgkmcnt(0)
	v_cmp_ne_u64_e32 vcc, 0, v[2:3]
	s_cbranch_vccz .LBB4_335
; %bb.297:                              ;   in Loop: Header=BB4_83 Depth=1
	s_mov_b64 s[36:37], -1
	s_and_saveexec_b64 s[38:39], s[26:27]
	s_cbranch_execz .LBB4_299
; %bb.298:                              ;   in Loop: Header=BB4_83 Depth=1
	ds_read_b32 v1, v0 offset:720
	s_waitcnt lgkmcnt(0)
	v_and_b32_e32 v1, 15, v1
	v_cmp_eq_u32_e32 vcc, 0, v1
	s_orn2_b64 s[36:37], vcc, exec
.LBB4_299:                              ;   in Loop: Header=BB4_83 Depth=1
	s_or_b64 exec, exec, s[38:39]
	s_and_saveexec_b64 s[38:39], s[24:25]
	s_cbranch_execz .LBB4_301
; %bb.300:                              ;   in Loop: Header=BB4_83 Depth=1
	ds_read_b32 v1, v0 offset:784
	s_waitcnt lgkmcnt(0)
	v_and_b32_e32 v1, 15, v1
	v_cmp_eq_u32_e32 vcc, 0, v1
	s_and_b64 vcc, s[36:37], vcc
	s_andn2_b64 s[36:37], s[36:37], exec
	s_and_b64 vcc, vcc, exec
	s_or_b64 s[36:37], s[36:37], vcc
.LBB4_301:                              ;   in Loop: Header=BB4_83 Depth=1
	s_or_b64 exec, exec, s[38:39]
	s_xor_b64 vcc, s[36:37], -1
	v_cndmask_b32_e64 v1, 0, 1, vcc
	;;#ASMSTART
	;;#ASMEND
	s_mov_b64 s[38:39], -1
	v_cmp_ne_u32_e32 vcc, 0, v1
	v_mov_b32_e32 v1, 0
	v_mov_b32_e32 v10, v37
	;; [unrolled: 1-line block ×3, first 2 shown]
	s_cbranch_vccnz .LBB4_317
; %bb.302:                              ;   in Loop: Header=BB4_83 Depth=1
	v_ashrrev_i32_e32 v1, 31, v37
	v_lshrrev_b32_e32 v1, 22, v1
	v_add_u32_e32 v1, v37, v1
	v_and_b32_e32 v55, 0xfffffc00, v1
	v_accvgpr_read_b32 v2, a10
	v_sub_u32_e32 v39, v37, v55
	v_sub_u32_e32 v31, v37, v2
	v_ashrrev_i32_e32 v2, 10, v1
	v_cmp_lt_i32_e64 s[36:37], 15, v39
	v_accvgpr_read_b32 v1, a13
	v_addc_co_u32_e64 v38, vcc, v2, v1, s[36:37]
	v_cmp_lt_i32_e32 vcc, 15, v31
	v_accvgpr_read_b32 v3, a11
	s_and_saveexec_b64 s[66:67], vcc
	s_cbranch_execz .LBB4_308
; %bb.303:                              ;   in Loop: Header=BB4_83 Depth=1
	s_trap 2
	ds_read_b64 v[2:3], v0
	ds_read_b128 v[12:15], v0
	v_accvgpr_read_b32 v51, a11
	v_accvgpr_read_b32 v50, a10
	s_mov_b64 s[68:69], 0
	s_waitcnt lgkmcnt(0)
	v_add_co_u32_e32 v44, vcc, v2, v50
	v_addc_co_u32_e32 v45, vcc, v3, v51, vcc
	v_add_co_u32_e32 v2, vcc, v12, v50
	v_addc_co_u32_e32 v1, vcc, v13, v51, vcc
	;; [unrolled: 2-line block ×3, first 2 shown]
.LBB4_304:                              ;   Parent Loop BB4_83 Depth=1
                                        ; =>  This Loop Header: Depth=2
                                        ;       Child Loop BB4_305 Depth 3
	global_load_dwordx4 v[12:15], v[44:45], off glc slc
	s_mov_b64 s[72:73], -1
	s_mov_b64 s[70:71], 0
	s_waitcnt vmcnt(0)
.LBB4_305:                              ;   Parent Loop BB4_83 Depth=1
                                        ;     Parent Loop BB4_304 Depth=2
                                        ; =>    This Inner Loop Header: Depth=3
	s_cmp_eq_u32 s70, 0
	s_cselect_b64 s[38:39], -1, 0
	s_cmp_eq_u32 s70, 1
	s_cselect_b64 s[42:43], -1, 0
	v_cndmask_b32_e64 v20, 0, 1, s[72:73]
	v_cndmask_b32_e64 v50, v2, v10, s[42:43]
	v_cmp_ne_u32_e64 s[40:41], 1, v20
	v_cndmask_b32_e64 v51, v1, v3, s[42:43]
	v_add_co_u32_e32 v20, vcc, 0x400, v50
	global_store_dwordx4 v[50:51], v[12:15], off glc slc
	v_addc_co_u32_e32 v50, vcc, 0, v51, vcc
	s_mov_b64 s[72:73], 0
	s_mov_b64 s[70:71], 1
	v_cndmask_b32_e64 v10, v10, v20, s[42:43]
	s_and_b64 vcc, exec, s[40:41]
	v_cndmask_b32_e64 v3, v3, v50, s[42:43]
	v_cndmask_b32_e64 v1, v1, v50, s[38:39]
	;; [unrolled: 1-line block ×3, first 2 shown]
	s_cbranch_vccz .LBB4_305
; %bb.306:                              ;   in Loop: Header=BB4_304 Depth=2
	v_add_co_u32_e32 v2, vcc, v2, v54
	v_addc_co_u32_e32 v1, vcc, v1, v33, vcc
	v_add_co_u32_e32 v10, vcc, v10, v54
	v_addc_co_u32_e32 v3, vcc, v3, v33, vcc
	;; [unrolled: 2-line block ×3, first 2 shown]
	v_sub_u32_e32 v31, v31, v57
	v_cmp_gt_i32_e32 vcc, 16, v31
	s_or_b64 s[68:69], vcc, s[68:69]
	v_sub_u32_e32 v38, v38, v30
	s_andn2_b64 exec, exec, s[68:69]
	s_cbranch_execnz .LBB4_304
; %bb.307:                              ;   in Loop: Header=BB4_83 Depth=1
	s_or_b64 exec, exec, s[68:69]
.LBB4_308:                              ;   in Loop: Header=BB4_83 Depth=1
	s_or_b64 exec, exec, s[66:67]
	v_and_b32_e32 v2, 15, v37
	v_cndmask_b32_e64 v62, v39, v2, s[36:37]
	v_cmp_ne_u32_e32 vcc, 0, v62
	s_mov_b64 s[38:39], 0
	v_mov_b32_e32 v1, 0
                                        ; implicit-def: $vgpr10
                                        ; implicit-def: $vgpr43
	s_and_saveexec_b64 s[66:67], vcc
	s_cbranch_execz .LBB4_316
; %bb.309:                              ;   in Loop: Header=BB4_83 Depth=1
	v_sub_u32_e32 v1, v39, v2
	v_cndmask_b32_e64 v1, 0, v1, s[36:37]
	v_cmp_lt_i32_e32 vcc, 0, v38
	v_add_u32_e32 v43, v1, v55
	v_cndmask_b32_e32 v1, 0, v30, vcc
	v_sub_u32_e32 v1, v1, v38
	v_accvgpr_read_b32 v2, a12
	v_lshl_add_u32 v1, v1, 6, v2
	v_ashrrev_i32_e32 v2, 31, v1
	v_lshrrev_b32_e32 v2, 26, v2
	v_add_u32_e32 v2, v1, v2
	v_ashrrev_i32_e32 v3, 6, v2
	v_and_b32_e32 v2, 0xffffffc0, v2
	v_sub_u32_e32 v55, v1, v2
	v_ashrrev_i32_e32 v2, 31, v62
	v_lshrrev_b32_e32 v2, 22, v2
	v_add_u32_e32 v2, v62, v2
	v_and_b32_e32 v38, 0xfffffc00, v2
	v_lshlrev_b32_e32 v1, 4, v55
	v_sub_u32_e32 v39, v62, v38
	v_lshl_add_u32 v1, v3, 10, v1
	v_ashrrev_i32_e32 v10, 10, v2
	v_cmp_lt_i32_e64 s[36:37], 15, v39
	v_sub_u32_e32 v31, v62, v1
	v_addc_co_u32_e64 v2, vcc, 0, v10, s[36:37]
	v_sub_u32_e32 v56, v2, v3
	v_cmp_lt_i32_e32 vcc, 15, v31
	s_and_saveexec_b64 s[68:69], vcc
	s_cbranch_execz .LBB4_315
; %bb.310:                              ;   in Loop: Header=BB4_83 Depth=1
	s_trap 2
	ds_read_b64 v[2:3], v0
	ds_read_b128 v[12:15], v0
	v_add_u32_e32 v10, v1, v43
	v_ashrrev_i32_e32 v20, 31, v10
	s_mov_b64 s[70:71], 0
	s_waitcnt lgkmcnt(0)
	v_add_co_u32_e32 v44, vcc, v2, v10
	v_addc_co_u32_e32 v45, vcc, v3, v20, vcc
	v_add_co_u32_e32 v2, vcc, v12, v10
	v_addc_co_u32_e32 v1, vcc, v13, v20, vcc
	;; [unrolled: 2-line block ×3, first 2 shown]
.LBB4_311:                              ;   Parent Loop BB4_83 Depth=1
                                        ; =>  This Loop Header: Depth=2
                                        ;       Child Loop BB4_312 Depth 3
	global_load_dwordx4 v[12:15], v[44:45], off glc slc
	s_mov_b64 s[74:75], -1
	s_mov_b64 s[72:73], 0
	s_waitcnt vmcnt(0)
.LBB4_312:                              ;   Parent Loop BB4_83 Depth=1
                                        ;     Parent Loop BB4_311 Depth=2
                                        ; =>    This Inner Loop Header: Depth=3
	s_cmp_eq_u32 s72, 0
	s_cselect_b64 s[38:39], -1, 0
	s_cmp_eq_u32 s72, 1
	s_cselect_b64 s[42:43], -1, 0
	v_cndmask_b32_e64 v20, 0, 1, s[74:75]
	v_cndmask_b32_e64 v50, v2, v10, s[42:43]
	v_cmp_ne_u32_e64 s[40:41], 1, v20
	v_cndmask_b32_e64 v51, v1, v3, s[42:43]
	v_add_co_u32_e32 v20, vcc, 0x400, v50
	global_store_dwordx4 v[50:51], v[12:15], off glc slc
	v_addc_co_u32_e32 v50, vcc, 0, v51, vcc
	s_mov_b64 s[74:75], 0
	s_mov_b64 s[72:73], 1
	v_cndmask_b32_e64 v10, v10, v20, s[42:43]
	s_and_b64 vcc, exec, s[40:41]
	v_cndmask_b32_e64 v3, v3, v50, s[42:43]
	v_cndmask_b32_e64 v1, v1, v50, s[38:39]
	;; [unrolled: 1-line block ×3, first 2 shown]
	s_cbranch_vccz .LBB4_312
; %bb.313:                              ;   in Loop: Header=BB4_311 Depth=2
	v_add_co_u32_e32 v2, vcc, v2, v54
	v_addc_co_u32_e32 v1, vcc, v1, v33, vcc
	v_add_co_u32_e32 v10, vcc, v10, v54
	v_addc_co_u32_e32 v3, vcc, v3, v33, vcc
	;; [unrolled: 2-line block ×3, first 2 shown]
	v_sub_u32_e32 v31, v31, v57
	v_cmp_gt_i32_e32 vcc, 16, v31
	s_or_b64 s[70:71], vcc, s[70:71]
	v_sub_u32_e32 v56, v56, v30
	s_andn2_b64 exec, exec, s[70:71]
	s_cbranch_execnz .LBB4_311
; %bb.314:                              ;   in Loop: Header=BB4_83 Depth=1
	s_or_b64 exec, exec, s[70:71]
.LBB4_315:                              ;   in Loop: Header=BB4_83 Depth=1
	s_or_b64 exec, exec, s[68:69]
	v_and_b32_e32 v2, 15, v62
	v_cmp_lt_i32_e32 vcc, 0, v56
	v_sub_u32_e32 v1, v39, v2
	v_cndmask_b32_e64 v10, v39, v2, s[36:37]
	v_cndmask_b32_e32 v2, 0, v30, vcc
	v_cndmask_b32_e64 v1, 0, v1, s[36:37]
	v_sub_u32_e32 v2, v2, v56
	v_cmp_ne_u32_e32 vcc, 0, v10
	v_add3_u32 v1, v38, v43, v1
	v_lshl_add_u32 v43, v2, 6, v55
	s_and_b64 s[38:39], vcc, exec
	v_mov_b32_e32 v56, 1
.LBB4_316:                              ;   in Loop: Header=BB4_83 Depth=1
	s_or_b64 exec, exec, s[66:67]
.LBB4_317:                              ;   in Loop: Header=BB4_83 Depth=1
	s_and_saveexec_b64 s[40:41], s[38:39]
	s_cbranch_execz .LBB4_328
; %bb.318:                              ;   in Loop: Header=BB4_83 Depth=1
	v_ashrrev_i32_e32 v2, 31, v43
	v_ashrrev_i32_e32 v3, 31, v10
	v_lshrrev_b32_e32 v2, 26, v2
	v_lshrrev_b32_e32 v3, 23, v3
	v_add_u32_e32 v2, v43, v2
	v_add_u32_e32 v3, v10, v3
	v_ashrrev_i32_e32 v44, 6, v2
	v_ashrrev_i32_e32 v62, 9, v3
	v_sub_u32_e32 v45, v62, v44
	v_cmp_lt_i32_e32 vcc, 0, v45
	s_and_saveexec_b64 s[36:37], vcc
	s_cbranch_execz .LBB4_322
; %bb.319:                              ;   in Loop: Header=BB4_83 Depth=1
	s_trap 2
	ds_read_b64 v[38:39], v0
	ds_read_b128 v[12:15], v0
	v_and_b32_e32 v2, 0xffffffc0, v2
	v_sub_u32_e32 v2, v43, v2
	v_lshlrev_b32_e32 v3, 9, v44
	v_add3_u32 v20, v1, v2, v3
	v_ashrrev_i32_e32 v31, 31, v20
	s_waitcnt lgkmcnt(0)
	v_add_co_u32_e32 v2, vcc, v12, v20
	v_addc_co_u32_e32 v3, vcc, v13, v31, vcc
	v_add_co_u32_e32 v12, vcc, v14, v20
	v_addc_co_u32_e32 v13, vcc, v15, v31, vcc
	;; [unrolled: 2-line block ×4, first 2 shown]
	s_mov_b64 s[38:39], 0
.LBB4_320:                              ;   Parent Loop BB4_83 Depth=1
                                        ; =>  This Inner Loop Header: Depth=2
	v_add_co_u32_e32 v38, vcc, 0xfffffe40, v14
	v_addc_co_u32_e32 v39, vcc, -1, v15, vcc
	v_add_co_u32_e32 v50, vcc, 0xfffffe80, v14
	v_addc_co_u32_e32 v51, vcc, -1, v15, vcc
	flat_load_ubyte v31, v[38:39] glc slc
	v_add_co_u32_e32 v38, vcc, 0xfffffec0, v14
	v_addc_co_u32_e32 v39, vcc, -1, v15, vcc
	flat_load_ubyte v52, v[50:51] glc slc
	v_add_co_u32_e32 v50, vcc, 0xffffff00, v14
	flat_load_ubyte v20, v[14:15] glc slc
	v_addc_co_u32_e32 v51, vcc, -1, v15, vcc
	flat_load_ubyte v53, v[38:39] glc slc
	v_add_co_u32_e32 v38, vcc, 0xffffff40, v14
	v_addc_co_u32_e32 v39, vcc, -1, v15, vcc
	flat_load_ubyte v55, v[50:51] glc slc
	v_add_co_u32_e32 v50, vcc, 0xffffff80, v14
	;; [unrolled: 3-line block ×3, first 2 shown]
	flat_load_ubyte v50, v[50:51] glc slc
	v_addc_co_u32_e32 v39, vcc, -1, v15, vcc
	flat_load_ubyte v38, v[38:39] glc slc
	v_sub_u32_e32 v45, v45, v30
	v_cmp_gt_i32_e32 vcc, 1, v45
	s_or_b64 s[38:39], vcc, s[38:39]
	v_add_co_u32_e32 v14, vcc, v14, v58
	v_addc_co_u32_e32 v15, vcc, v15, v59, vcc
	s_waitcnt vmcnt(0) lgkmcnt(0)
	flat_store_byte v[2:3], v20 offset:448 glc slc
	flat_store_byte v[2:3], v31 glc slc
	flat_store_byte v[2:3], v52 offset:64 glc slc
	flat_store_byte v[2:3], v53 offset:128 glc slc
	;; [unrolled: 1-line block ×6, first 2 shown]
	flat_store_byte v[12:13], v31 glc slc
	flat_store_byte v[12:13], v52 offset:64 glc slc
	flat_store_byte v[12:13], v53 offset:128 glc slc
	;; [unrolled: 1-line block ×7, first 2 shown]
	v_add_co_u32_e32 v2, vcc, v2, v58
	v_addc_co_u32_e32 v3, vcc, v3, v59, vcc
	v_add_co_u32_e32 v12, vcc, v12, v58
	v_addc_co_u32_e32 v13, vcc, v13, v59, vcc
	s_andn2_b64 exec, exec, s[38:39]
	s_cbranch_execnz .LBB4_320
; %bb.321:                              ;   in Loop: Header=BB4_83 Depth=1
	s_or_b64 exec, exec, s[38:39]
	v_accvgpr_read_b32 v53, a7
	v_accvgpr_read_b32 v52, a6
	v_mov_b32_e32 v56, 1
.LBB4_322:                              ;   in Loop: Header=BB4_83 Depth=1
	s_or_b64 exec, exec, s[36:37]
	v_lshlrev_b32_e32 v2, 9, v62
	v_cmp_ne_u32_e32 vcc, v10, v2
	s_and_b64 exec, exec, vcc
	s_cbranch_execz .LBB4_328
; %bb.323:                              ;   in Loop: Header=BB4_83 Depth=1
	v_lshlrev_b32_e32 v3, 6, v44
	v_sub_u32_e32 v3, v43, v3
	v_lshlrev_b32_e32 v12, 6, v45
	v_sub_u32_e32 v3, v3, v12
	v_add_u32_e32 v2, v2, v3
	v_sub_u32_e32 v14, v10, v2
	v_cmp_lt_i32_e32 vcc, 0, v14
	s_and_b64 exec, exec, vcc
	s_cbranch_execz .LBB4_328
; %bb.324:                              ;   in Loop: Header=BB4_83 Depth=1
	s_trap 2
	ds_read_b64 v[12:13], v0
	ds_read_b128 v[50:53], v0
	v_add_u32_e32 v3, v2, v1
	v_ashrrev_i32_e32 v15, 31, v3
	s_mov_b64 s[42:43], 0
	s_waitcnt lgkmcnt(0)
	v_add_co_u32_e32 v12, vcc, v12, v3
	v_addc_co_u32_e32 v13, vcc, v13, v15, vcc
	v_add_co_u32_e32 v2, vcc, v50, v3
	v_addc_co_u32_e32 v1, vcc, v51, v15, vcc
	v_add_co_u32_e32 v10, vcc, v52, v3
	v_addc_co_u32_e32 v3, vcc, v53, v15, vcc
	v_accvgpr_read_b32 v53, a7
	v_accvgpr_read_b32 v50, a8
	;; [unrolled: 1-line block ×3, first 2 shown]
.LBB4_325:                              ;   Parent Loop BB4_83 Depth=1
                                        ; =>  This Loop Header: Depth=2
                                        ;       Child Loop BB4_326 Depth 3
	flat_load_ubyte v15, v[12:13] glc slc
	s_mov_b64 s[66:67], -1
	s_mov_b64 s[68:69], 0
	s_waitcnt vmcnt(0)
.LBB4_326:                              ;   Parent Loop BB4_83 Depth=1
                                        ;     Parent Loop BB4_325 Depth=2
                                        ; =>    This Inner Loop Header: Depth=3
	s_cmp_eq_u32 s68, 1
	s_cselect_b64 vcc, -1, 0
	v_cndmask_b32_e32 v38, v2, v10, vcc
	v_cndmask_b32_e32 v39, v1, v3, vcc
	v_add_co_u32_e64 v20, s[36:37], 64, v38
	s_cmp_eq_u32 s68, 0
	v_addc_co_u32_e64 v31, s[36:37], 0, v39, s[36:37]
	s_cselect_b64 s[36:37], -1, 0
	s_and_b64 s[38:39], exec, s[66:67]
	s_mov_b64 s[68:69], 1
	s_mov_b64 s[66:67], 0
	v_cndmask_b32_e32 v3, v3, v31, vcc
	v_cndmask_b32_e32 v10, v10, v20, vcc
	v_cndmask_b32_e64 v1, v1, v31, s[36:37]
	v_cndmask_b32_e64 v2, v2, v20, s[36:37]
	s_mov_b64 vcc, s[38:39]
	s_waitcnt lgkmcnt(0)
	flat_store_byte v[38:39], v15 glc slc
	s_cbranch_vccnz .LBB4_326
; %bb.327:                              ;   in Loop: Header=BB4_325 Depth=2
	v_add_co_u32_e32 v2, vcc, v2, v50
	v_addc_co_u32_e32 v1, vcc, v1, v11, vcc
	v_add_co_u32_e32 v10, vcc, v10, v50
	v_addc_co_u32_e32 v3, vcc, v3, v11, vcc
	v_sub_u32_e32 v14, v14, v47
	v_cmp_gt_i32_e32 vcc, 1, v14
	s_or_b64 s[42:43], vcc, s[42:43]
	v_add_co_u32_e32 v12, vcc, v60, v12
	v_addc_co_u32_e32 v13, vcc, v61, v13, vcc
	s_andn2_b64 exec, exec, s[42:43]
	s_cbranch_execnz .LBB4_325
.LBB4_328:                              ;   in Loop: Header=BB4_83 Depth=1
	s_or_b64 exec, exec, s[40:41]
	s_branch .LBB4_362
.LBB4_329:                              ;   in Loop: Header=BB4_83 Depth=1
	s_and_saveexec_b64 s[38:39], s[14:15]
	s_cbranch_execnz .LBB4_363
.LBB4_330:                              ;   in Loop: Header=BB4_83 Depth=1
	s_or_b64 exec, exec, s[38:39]
                                        ; implicit-def: $vgpr1
	s_and_saveexec_b64 vcc, s[28:29]
	s_xor_b64 s[38:39], exec, vcc
	s_cbranch_execz .LBB4_400
.LBB4_331:                              ;   in Loop: Header=BB4_83 Depth=1
	v_and_b32_e32 v2, 16, v46
	v_cmp_ne_u32_e32 vcc, 0, v2
	v_and_b32_e32 v1, 16, v46
	s_and_b64 s[36:37], vcc, s[36:37]
	s_and_saveexec_b64 vcc, s[36:37]
	s_cbranch_execz .LBB4_333
; %bb.332:                              ;   in Loop: Header=BB4_83 Depth=1
	v_mov_b32_e32 v1, 1
	s_waitcnt vmcnt(0) lgkmcnt(0)
	buffer_wbinvl1_vol
.LBB4_333:                              ;   in Loop: Header=BB4_83 Depth=1
	s_or_b64 exec, exec, vcc
	s_andn2_saveexec_b64 s[36:37], s[38:39]
	s_cbranch_execnz .LBB4_401
.LBB4_334:                              ;   in Loop: Header=BB4_83 Depth=1
	s_or_b64 exec, exec, s[36:37]
	v_cmp_ne_u32_e32 vcc, 0, v1
	s_and_saveexec_b64 s[36:37], vcc
	s_cbranch_execnz .LBB4_474
	s_branch .LBB4_477
.LBB4_335:                              ;   in Loop: Header=BB4_83 Depth=1
	s_cbranch_execz .LBB4_362
; %bb.336:                              ;   in Loop: Header=BB4_83 Depth=1
	s_mov_b64 s[36:37], -1
	s_and_saveexec_b64 s[38:39], s[26:27]
	s_cbranch_execz .LBB4_338
; %bb.337:                              ;   in Loop: Header=BB4_83 Depth=1
	ds_read_b32 v1, v0 offset:720
	s_waitcnt lgkmcnt(0)
	v_and_b32_e32 v1, 15, v1
	v_cmp_eq_u32_e32 vcc, 0, v1
	s_orn2_b64 s[36:37], vcc, exec
.LBB4_338:                              ;   in Loop: Header=BB4_83 Depth=1
	s_or_b64 exec, exec, s[38:39]
	s_and_saveexec_b64 s[38:39], s[26:27]
	s_cbranch_execz .LBB4_340
; %bb.339:                              ;   in Loop: Header=BB4_83 Depth=1
	ds_read_b32 v1, v0 offset:784
	s_waitcnt lgkmcnt(0)
	v_and_b32_e32 v1, 15, v1
	v_cmp_eq_u32_e32 vcc, 0, v1
	s_and_b64 vcc, s[36:37], vcc
	s_andn2_b64 s[36:37], s[36:37], exec
	s_and_b64 vcc, vcc, exec
	s_or_b64 s[36:37], s[36:37], vcc
.LBB4_340:                              ;   in Loop: Header=BB4_83 Depth=1
	s_or_b64 exec, exec, s[38:39]
	s_xor_b64 vcc, s[36:37], -1
	v_cndmask_b32_e64 v1, 0, 1, vcc
	s_mov_b64 s[40:41], -1
	;;#ASMSTART
	;;#ASMEND
	v_cmp_ne_u32_e32 vcc, 0, v1
	v_mov_b32_e32 v14, 0
	v_mov_b32_e32 v15, v37
	;; [unrolled: 1-line block ×3, first 2 shown]
	s_cbranch_vccnz .LBB4_352
; %bb.341:                              ;   in Loop: Header=BB4_83 Depth=1
	v_ashrrev_i32_e32 v1, 31, v37
	v_lshrrev_b32_e32 v1, 22, v1
	v_accvgpr_read_b32 v2, a10
	v_add_u32_e32 v1, v37, v1
	v_sub_u32_e32 v14, v37, v2
	v_ashrrev_i32_e32 v2, 10, v1
	v_and_b32_e32 v1, 0xfffffc00, v1
	v_accvgpr_read_b32 v3, a11
	v_sub_u32_e32 v38, v37, v1
	v_cmp_lt_i32_e32 vcc, 15, v38
	v_accvgpr_read_b32 v3, a13
	v_addc_co_u32_e64 v10, s[36:37], v2, v3, vcc
	v_cmp_lt_i32_e64 s[36:37], 15, v14
	s_and_saveexec_b64 s[38:39], s[36:37]
	s_cbranch_execz .LBB4_345
; %bb.342:                              ;   in Loop: Header=BB4_83 Depth=1
	s_trap 2
	ds_read_b64 v[2:3], v0
	v_accvgpr_read_b32 v13, a11
	s_mov_b64 s[40:41], 0
	v_accvgpr_read_b32 v12, a10
.LBB4_343:                              ;   Parent Loop BB4_83 Depth=1
                                        ; =>  This Inner Loop Header: Depth=2
	s_waitcnt lgkmcnt(0)
	v_add_co_u32_e64 v44, s[36:37], v2, v12
	v_addc_co_u32_e64 v45, s[36:37], v3, v13, s[36:37]
	global_load_dwordx4 v[50:53], v[44:45], off glc slc
	v_add_co_u32_e64 v12, s[36:37], v12, v25
	v_sub_u32_e32 v14, v14, v57
	v_addc_co_u32_e64 v13, s[36:37], v13, v18, s[36:37]
	v_cmp_gt_i32_e64 s[36:37], 16, v14
	v_sub_u32_e32 v10, v10, v30
	s_or_b64 s[40:41], s[36:37], s[40:41]
	s_waitcnt vmcnt(0)
	global_store_dwordx4 v[44:45], v[50:53], off glc slc
	s_andn2_b64 exec, exec, s[40:41]
	s_cbranch_execnz .LBB4_343
; %bb.344:                              ;   in Loop: Header=BB4_83 Depth=1
	s_or_b64 exec, exec, s[40:41]
	v_accvgpr_read_b32 v53, a7
	v_accvgpr_read_b32 v52, a6
.LBB4_345:                              ;   in Loop: Header=BB4_83 Depth=1
	s_or_b64 exec, exec, s[38:39]
	v_and_b32_e32 v2, 15, v37
	v_cndmask_b32_e32 v12, v38, v2, vcc
	v_cmp_ne_u32_e64 s[36:37], 0, v12
	s_mov_b64 s[40:41], 0
	v_mov_b32_e32 v14, 0
                                        ; implicit-def: $vgpr15
                                        ; implicit-def: $vgpr31
	s_and_saveexec_b64 s[38:39], s[36:37]
	s_cbranch_execz .LBB4_351
; %bb.346:                              ;   in Loop: Header=BB4_83 Depth=1
	v_sub_u32_e32 v2, v38, v2
	v_cndmask_b32_e32 v2, 0, v2, vcc
	v_cmp_lt_i32_e32 vcc, 0, v10
	v_add_u32_e32 v13, v2, v1
	v_cndmask_b32_e32 v1, 0, v30, vcc
	v_sub_u32_e32 v1, v1, v10
	v_accvgpr_read_b32 v2, a12
	v_lshl_add_u32 v1, v1, 6, v2
	v_ashrrev_i32_e32 v2, 31, v1
	v_lshrrev_b32_e32 v2, 26, v2
	v_add_u32_e32 v2, v1, v2
	v_ashrrev_i32_e32 v3, 6, v2
	v_and_b32_e32 v2, 0xffffffc0, v2
	v_sub_u32_e32 v31, v1, v2
	v_ashrrev_i32_e32 v2, 31, v12
	v_lshrrev_b32_e32 v2, 22, v2
	v_add_u32_e32 v2, v12, v2
	v_and_b32_e32 v14, 0xfffffc00, v2
	v_lshlrev_b32_e32 v1, 4, v31
	v_sub_u32_e32 v15, v12, v14
	v_lshl_add_u32 v1, v3, 10, v1
	v_ashrrev_i32_e32 v10, 10, v2
	v_cmp_lt_i32_e32 vcc, 15, v15
	v_sub_u32_e32 v39, v12, v1
	v_addc_co_u32_e64 v2, s[36:37], 0, v10, vcc
	v_sub_u32_e32 v38, v2, v3
	v_cmp_lt_i32_e64 s[36:37], 15, v39
	s_and_saveexec_b64 s[40:41], s[36:37]
	s_cbranch_execz .LBB4_350
; %bb.347:                              ;   in Loop: Header=BB4_83 Depth=1
	s_trap 2
	ds_read_b64 v[2:3], v0
	v_add_u32_e32 v10, v1, v13
	v_ashrrev_i32_e32 v1, 31, v10
	s_mov_b64 s[42:43], 0
.LBB4_348:                              ;   Parent Loop BB4_83 Depth=1
                                        ; =>  This Inner Loop Header: Depth=2
	s_waitcnt lgkmcnt(0)
	v_add_co_u32_e64 v44, s[36:37], v2, v10
	v_addc_co_u32_e64 v45, s[36:37], v3, v1, s[36:37]
	global_load_dwordx4 v[50:53], v[44:45], off glc slc
	v_add_co_u32_e64 v10, s[36:37], v10, v25
	v_sub_u32_e32 v39, v39, v57
	v_addc_co_u32_e64 v1, s[36:37], v1, v18, s[36:37]
	v_cmp_gt_i32_e64 s[36:37], 16, v39
	v_sub_u32_e32 v38, v38, v30
	s_or_b64 s[42:43], s[36:37], s[42:43]
	s_waitcnt vmcnt(0)
	global_store_dwordx4 v[44:45], v[50:53], off glc slc
	s_andn2_b64 exec, exec, s[42:43]
	s_cbranch_execnz .LBB4_348
; %bb.349:                              ;   in Loop: Header=BB4_83 Depth=1
	s_or_b64 exec, exec, s[42:43]
	v_accvgpr_read_b32 v53, a7
	v_accvgpr_read_b32 v52, a6
.LBB4_350:                              ;   in Loop: Header=BB4_83 Depth=1
	s_or_b64 exec, exec, s[40:41]
	v_and_b32_e32 v1, 15, v12
	v_sub_u32_e32 v2, v15, v1
	v_cndmask_b32_e32 v2, 0, v2, vcc
	v_cndmask_b32_e32 v15, v15, v1, vcc
	v_cmp_lt_i32_e32 vcc, 0, v38
	v_cndmask_b32_e32 v1, 0, v30, vcc
	v_sub_u32_e32 v1, v1, v38
	v_cmp_ne_u32_e32 vcc, 0, v15
	v_add3_u32 v14, v14, v13, v2
	v_lshl_add_u32 v31, v1, 6, v31
	s_and_b64 s[40:41], vcc, exec
.LBB4_351:                              ;   in Loop: Header=BB4_83 Depth=1
	s_or_b64 exec, exec, s[38:39]
.LBB4_352:                              ;   in Loop: Header=BB4_83 Depth=1
	s_and_saveexec_b64 s[36:37], s[40:41]
	s_cbranch_execz .LBB4_361
; %bb.353:                              ;   in Loop: Header=BB4_83 Depth=1
	v_ashrrev_i32_e32 v1, 31, v31
	v_ashrrev_i32_e32 v2, 31, v15
	v_lshrrev_b32_e32 v1, 26, v1
	v_lshrrev_b32_e32 v2, 23, v2
	v_add_u32_e32 v1, v31, v1
	v_add_u32_e32 v2, v15, v2
	v_ashrrev_i32_e32 v38, 6, v1
	v_ashrrev_i32_e32 v55, 9, v2
	v_sub_u32_e32 v39, v55, v38
	v_cmp_lt_i32_e32 vcc, 0, v39
	s_and_saveexec_b64 s[38:39], vcc
	s_cbranch_execz .LBB4_357
; %bb.354:                              ;   in Loop: Header=BB4_83 Depth=1
	s_trap 2
	ds_read_b64 v[2:3], v0
	v_and_b32_e32 v1, 0xffffffc0, v1
	v_sub_u32_e32 v1, v31, v1
	v_lshlrev_b32_e32 v10, 9, v38
	v_add3_u32 v10, v14, v1, v10
	v_ashrrev_i32_e32 v1, 31, v10
	s_mov_b64 s[40:41], 0
	s_waitcnt lgkmcnt(0)
	v_pk_mov_b32 v[12:13], v[2:3], v[2:3] op_sel:[0,1]
.LBB4_355:                              ;   Parent Loop BB4_83 Depth=1
                                        ; =>  This Inner Loop Header: Depth=2
	v_add_co_u32_e32 v50, vcc, v10, v12
	v_addc_co_u32_e32 v51, vcc, v1, v13, vcc
	flat_load_ubyte v20, v[50:51] glc slc
	flat_load_ubyte v52, v[50:51] offset:64 glc slc
	flat_load_ubyte v53, v[50:51] offset:128 glc slc
	flat_load_ubyte v43, v[50:51] offset:192 glc slc
	flat_load_ubyte v44, v[50:51] offset:256 glc slc
	flat_load_ubyte v45, v[50:51] offset:320 glc slc
	flat_load_ubyte v56, v[50:51] offset:384 glc slc
	flat_load_ubyte v62, v[50:51] offset:448 glc slc
	v_add_co_u32_e32 v50, vcc, v10, v2
	v_addc_co_u32_e32 v51, vcc, v1, v3, vcc
	v_add_co_u32_e32 v12, vcc, v12, v58
	v_addc_co_u32_e32 v13, vcc, v13, v59, vcc
	v_add_co_u32_e32 v2, vcc, v2, v58
	v_sub_u32_e32 v39, v39, v30
	v_addc_co_u32_e32 v3, vcc, v3, v59, vcc
	v_cmp_gt_i32_e32 vcc, 1, v39
	s_or_b64 s[40:41], vcc, s[40:41]
	s_waitcnt vmcnt(0) lgkmcnt(0)
	flat_store_byte v[50:51], v20 glc slc
	flat_store_byte v[50:51], v52 offset:64 glc slc
	flat_store_byte v[50:51], v53 offset:128 glc slc
	;; [unrolled: 1-line block ×7, first 2 shown]
	s_andn2_b64 exec, exec, s[40:41]
	s_cbranch_execnz .LBB4_355
; %bb.356:                              ;   in Loop: Header=BB4_83 Depth=1
	s_or_b64 exec, exec, s[40:41]
	v_accvgpr_read_b32 v53, a7
	v_accvgpr_read_b32 v52, a6
	v_mov_b32_e32 v56, 1
.LBB4_357:                              ;   in Loop: Header=BB4_83 Depth=1
	s_or_b64 exec, exec, s[38:39]
	v_lshlrev_b32_e32 v1, 9, v55
	v_cmp_ne_u32_e32 vcc, v15, v1
	s_and_b64 exec, exec, vcc
	s_cbranch_execz .LBB4_361
; %bb.358:                              ;   in Loop: Header=BB4_83 Depth=1
	v_lshlrev_b32_e32 v2, 6, v38
	v_sub_u32_e32 v2, v31, v2
	v_lshlrev_b32_e32 v3, 6, v39
	v_sub_u32_e32 v2, v2, v3
	v_add_u32_e32 v1, v1, v2
	v_sub_u32_e32 v12, v15, v1
	v_cmp_lt_i32_e32 vcc, 0, v12
	s_and_b64 exec, exec, vcc
	s_cbranch_execz .LBB4_361
; %bb.359:                              ;   in Loop: Header=BB4_83 Depth=1
	s_trap 2
	ds_read_b64 v[2:3], v0
	v_add_u32_e32 v10, v1, v14
	v_ashrrev_i32_e32 v1, 31, v10
	s_mov_b64 s[38:39], 0
.LBB4_360:                              ;   Parent Loop BB4_83 Depth=1
                                        ; =>  This Inner Loop Header: Depth=2
	s_waitcnt lgkmcnt(0)
	v_add_co_u32_e32 v14, vcc, v2, v10
	v_addc_co_u32_e32 v15, vcc, v3, v1, vcc
	flat_load_ubyte v13, v[14:15] glc slc
	v_add_co_u32_e32 v10, vcc, v10, v60
	v_sub_u32_e32 v12, v12, v47
	v_addc_co_u32_e32 v1, vcc, v1, v61, vcc
	v_cmp_gt_i32_e32 vcc, 1, v12
	s_or_b64 s[38:39], vcc, s[38:39]
	s_waitcnt vmcnt(0) lgkmcnt(0)
	flat_store_byte v[14:15], v13 glc slc
	s_andn2_b64 exec, exec, s[38:39]
	s_cbranch_execnz .LBB4_360
.LBB4_361:                              ;   in Loop: Header=BB4_83 Depth=1
	s_or_b64 exec, exec, s[36:37]
.LBB4_362:                              ;   in Loop: Header=BB4_83 Depth=1
	v_cmp_lt_i32_e64 s[36:37], 0, v37
	s_and_saveexec_b64 s[38:39], s[14:15]
	s_cbranch_execz .LBB4_330
.LBB4_363:                              ;   in Loop: Header=BB4_83 Depth=1
	s_and_saveexec_b64 vcc, s[52:53]
	s_xor_b64 s[40:41], exec, vcc
	s_cbranch_execz .LBB4_397
; %bb.364:                              ;   in Loop: Header=BB4_83 Depth=1
	s_and_saveexec_b64 s[42:43], s[20:21]
	s_cbranch_execz .LBB4_396
; %bb.365:                              ;   in Loop: Header=BB4_83 Depth=1
	s_mov_b64 s[68:69], exec
	v_mbcnt_lo_u32_b32 v1, s68, 0
	v_mbcnt_hi_u32_b32 v1, s69, v1
	v_cmp_eq_u32_e32 vcc, 0, v1
	s_waitcnt vmcnt(0) lgkmcnt(0)
	buffer_wbinvl1_vol
	s_and_saveexec_b64 s[66:67], vcc
	s_cbranch_execz .LBB4_367
; %bb.366:                              ;   in Loop: Header=BB4_83 Depth=1
	s_bcnt1_i32_b64 vcc_lo, s[68:69]
	v_mov_b32_e32 v2, vcc_lo
	v_mov_b32_e32 v3, v36
	ds_add_u64 v0, v[2:3]
	s_trap 2
.LBB4_367:                              ;   in Loop: Header=BB4_83 Depth=1
	s_or_b64 exec, exec, s[66:67]
	s_trap 2
	ds_read_b64 v[2:3], v0
	v_add_co_u32_e32 v28, vcc, v28, v30
	v_addc_co_u32_e32 v29, vcc, 0, v29, vcc
	s_waitcnt lgkmcnt(0)
	v_cmp_lt_u64_e32 vcc, v[2:3], v[28:29]
	s_and_saveexec_b64 s[66:67], vcc
	s_cbranch_execz .LBB4_395
; %bb.368:                              ;   in Loop: Header=BB4_83 Depth=1
	s_mov_b32 s78, 0
	s_mov_b64 s[68:69], 0
                                        ; implicit-def: $sgpr70_sgpr71
                                        ; implicit-def: $sgpr72_sgpr73
	s_branch .LBB4_370
.LBB4_369:                              ;   in Loop: Header=BB4_370 Depth=2
	s_or_b64 exec, exec, s[76:77]
	s_and_b64 vcc, exec, vcc
	s_or_b64 s[68:69], vcc, s[68:69]
	s_andn2_b64 vcc, s[70:71], exec
	s_and_b64 s[70:71], s[72:73], exec
	s_or_b64 s[70:71], vcc, s[70:71]
	s_andn2_b64 exec, exec, s[68:69]
	s_cbranch_execz .LBB4_393
.LBB4_370:                              ;   Parent Loop BB4_83 Depth=1
                                        ; =>  This Inner Loop Header: Depth=2
	s_add_i32 s78, s78, 1
	s_cmpk_lg_i32 s78, 0x2710
	s_cselect_b64 s[74:75], -1, 0
	s_and_b64 vcc, exec, s[74:75]
                                        ; implicit-def: $sgpr76_sgpr77
	s_cbranch_vccnz .LBB4_372
; %bb.371:                              ;   in Loop: Header=BB4_370 Depth=2
	s_trap 2
	ds_read_b64 v[2:3], v0
	s_andn2_b64 s[74:75], s[74:75], exec
	s_mov_b32 s78, 0
	s_mov_b64 s[76:77], -1
	s_waitcnt lgkmcnt(0)
	flat_load_dword v1, v[2:3] glc
	s_waitcnt vmcnt(0) lgkmcnt(0)
	buffer_invl2
	buffer_wbinvl1_vol
	v_cmp_eq_u32_e32 vcc, 0, v1
	s_and_b64 vcc, vcc, exec
	s_or_b64 s[74:75], s[74:75], vcc
.LBB4_372:                              ;   in Loop: Header=BB4_370 Depth=2
	s_andn2_b64 s[72:73], s[72:73], exec
	s_and_b64 s[76:77], s[76:77], exec
	s_mov_b64 vcc, -1
	s_or_b64 s[72:73], s[72:73], s[76:77]
	s_and_saveexec_b64 s[76:77], s[74:75]
	s_cbranch_execz .LBB4_369
; %bb.373:                              ;   in Loop: Header=BB4_370 Depth=2
	s_sleep 1
	s_trap 2
	ds_read_b64 v[2:3], v0
	s_andn2_b64 s[72:73], s[72:73], exec
	s_waitcnt lgkmcnt(0)
	v_cmp_ge_u64_e32 vcc, v[2:3], v[28:29]
	s_orn2_b64 vcc, vcc, exec
	s_branch .LBB4_369
.LBB4_374:                              ;   in Loop: Header=BB4_83 Depth=1
	s_or_b64 exec, exec, s[66:67]
	s_and_saveexec_b64 vcc, s[68:69]
	s_xor_b64 vcc, exec, vcc
	s_cbranch_execz .LBB4_376
; %bb.375:                              ;   in Loop: Header=BB4_83 Depth=1
	ds_write_b32 v0, v56
	s_trap 2
.LBB4_376:                              ;   in Loop: Header=BB4_83 Depth=1
	s_or_b64 exec, exec, s[64:65]
	;;#ASMSTART
	s_wakeup
	;;#ASMEND
.LBB4_377:                              ;   in Loop: Header=BB4_83 Depth=1
	s_or_b64 exec, exec, s[42:43]
.LBB4_378:                              ;   in Loop: Header=BB4_83 Depth=1
	s_andn2_saveexec_b64 vcc, s[40:41]
	s_cbranch_execz .LBB4_380
; %bb.379:                              ;   in Loop: Header=BB4_83 Depth=1
	s_waitcnt vmcnt(0) lgkmcnt(0)
	buffer_wbinvl1_vol
	s_barrier
.LBB4_380:                              ;   in Loop: Header=BB4_83 Depth=1
	s_or_b64 exec, exec, vcc
	s_or_b64 exec, exec, s[38:39]
                                        ; implicit-def: $vgpr1
	s_and_saveexec_b64 vcc, s[28:29]
	s_xor_b64 s[38:39], exec, vcc
	s_cbranch_execnz .LBB4_246
.LBB4_381:                              ;   in Loop: Header=BB4_83 Depth=1
	s_andn2_saveexec_b64 s[36:37], s[38:39]
	s_cbranch_execz .LBB4_419
.LBB4_382:                              ;   in Loop: Header=BB4_83 Depth=1
	s_and_saveexec_b64 vcc, s[52:53]
	s_xor_b64 s[38:39], exec, vcc
	s_cbranch_execz .LBB4_416
; %bb.383:                              ;   in Loop: Header=BB4_83 Depth=1
	s_and_saveexec_b64 s[40:41], s[20:21]
	s_cbranch_execz .LBB4_415
; %bb.384:                              ;   in Loop: Header=BB4_83 Depth=1
	s_mov_b64 s[64:65], exec
	v_mbcnt_lo_u32_b32 v1, s64, 0
	v_mbcnt_hi_u32_b32 v1, s65, v1
	v_cmp_eq_u32_e32 vcc, 0, v1
	;;#ASMSTART
	s_waitcnt lgkmcnt(0) vmcnt(0)
	;;#ASMEND
	s_and_saveexec_b64 s[42:43], vcc
	s_cbranch_execz .LBB4_386
; %bb.385:                              ;   in Loop: Header=BB4_83 Depth=1
	s_bcnt1_i32_b64 vcc_lo, s[64:65]
	v_mov_b32_e32 v2, vcc_lo
	v_mov_b32_e32 v3, v36
	ds_add_u64 v0, v[2:3]
	s_trap 2
.LBB4_386:                              ;   in Loop: Header=BB4_83 Depth=1
	s_or_b64 exec, exec, s[42:43]
	s_trap 2
	ds_read_b64 v[2:3], v0
	v_add_co_u32_e32 v28, vcc, v28, v30
	v_addc_co_u32_e32 v29, vcc, 0, v29, vcc
	s_waitcnt lgkmcnt(0)
	v_cmp_lt_u64_e32 vcc, v[2:3], v[28:29]
	s_and_saveexec_b64 s[42:43], vcc
	s_cbranch_execz .LBB4_414
; %bb.387:                              ;   in Loop: Header=BB4_83 Depth=1
	s_mov_b32 s74, 0
	s_mov_b64 s[64:65], 0
                                        ; implicit-def: $sgpr66_sgpr67
                                        ; implicit-def: $sgpr68_sgpr69
	s_branch .LBB4_389
.LBB4_388:                              ;   in Loop: Header=BB4_389 Depth=2
	s_or_b64 exec, exec, s[72:73]
	s_and_b64 vcc, exec, vcc
	s_or_b64 s[64:65], vcc, s[64:65]
	s_andn2_b64 vcc, s[66:67], exec
	s_and_b64 s[66:67], s[68:69], exec
	s_or_b64 s[66:67], vcc, s[66:67]
	s_andn2_b64 exec, exec, s[64:65]
	s_cbranch_execz .LBB4_412
.LBB4_389:                              ;   Parent Loop BB4_83 Depth=1
                                        ; =>  This Inner Loop Header: Depth=2
	s_add_i32 s74, s74, 1
	s_cmpk_lg_i32 s74, 0x2710
	s_cselect_b64 s[70:71], -1, 0
	s_and_b64 vcc, exec, s[70:71]
                                        ; implicit-def: $sgpr72_sgpr73
	s_cbranch_vccnz .LBB4_391
; %bb.390:                              ;   in Loop: Header=BB4_389 Depth=2
	s_trap 2
	ds_read_b64 v[2:3], v0
	s_andn2_b64 s[70:71], s[70:71], exec
	s_mov_b32 s74, 0
	s_mov_b64 s[72:73], -1
	s_waitcnt vmcnt(0) lgkmcnt(0)
	flat_load_dword v1, v[2:3] glc
	s_waitcnt vmcnt(0) lgkmcnt(0)
	buffer_invl2
	buffer_wbinvl1_vol
	v_cmp_eq_u32_e32 vcc, 0, v1
	s_and_b64 vcc, vcc, exec
	s_or_b64 s[70:71], s[70:71], vcc
.LBB4_391:                              ;   in Loop: Header=BB4_389 Depth=2
	s_andn2_b64 s[68:69], s[68:69], exec
	s_and_b64 s[72:73], s[72:73], exec
	s_mov_b64 vcc, -1
	s_or_b64 s[68:69], s[68:69], s[72:73]
	s_and_saveexec_b64 s[72:73], s[70:71]
	s_cbranch_execz .LBB4_388
; %bb.392:                              ;   in Loop: Header=BB4_389 Depth=2
	s_sleep 1
	s_trap 2
	ds_read_b64 v[2:3], v0
	s_andn2_b64 s[68:69], s[68:69], exec
	s_waitcnt lgkmcnt(0)
	v_cmp_ge_u64_e32 vcc, v[2:3], v[28:29]
	s_orn2_b64 vcc, vcc, exec
	s_branch .LBB4_388
.LBB4_393:                              ;   in Loop: Header=BB4_83 Depth=1
	s_or_b64 exec, exec, s[68:69]
	s_and_saveexec_b64 vcc, s[70:71]
	s_xor_b64 vcc, exec, vcc
	s_cbranch_execz .LBB4_395
; %bb.394:                              ;   in Loop: Header=BB4_83 Depth=1
	ds_write_b32 v0, v56
	s_trap 2
.LBB4_395:                              ;   in Loop: Header=BB4_83 Depth=1
	s_or_b64 exec, exec, s[66:67]
	;;#ASMSTART
	s_wakeup
	;;#ASMEND
.LBB4_396:                              ;   in Loop: Header=BB4_83 Depth=1
	s_or_b64 exec, exec, s[42:43]
.LBB4_397:                              ;   in Loop: Header=BB4_83 Depth=1
	s_andn2_saveexec_b64 vcc, s[40:41]
	s_cbranch_execz .LBB4_399
; %bb.398:                              ;   in Loop: Header=BB4_83 Depth=1
	s_waitcnt vmcnt(0) lgkmcnt(0)
	buffer_wbinvl1_vol
	s_barrier
.LBB4_399:                              ;   in Loop: Header=BB4_83 Depth=1
	s_or_b64 exec, exec, vcc
	s_or_b64 exec, exec, s[38:39]
                                        ; implicit-def: $vgpr1
	s_and_saveexec_b64 vcc, s[28:29]
	s_xor_b64 s[38:39], exec, vcc
	s_cbranch_execnz .LBB4_331
.LBB4_400:                              ;   in Loop: Header=BB4_83 Depth=1
	s_andn2_saveexec_b64 s[36:37], s[38:39]
	s_cbranch_execz .LBB4_334
.LBB4_401:                              ;   in Loop: Header=BB4_83 Depth=1
	s_and_saveexec_b64 vcc, s[52:53]
	s_xor_b64 s[38:39], exec, vcc
	s_cbranch_execz .LBB4_471
; %bb.402:                              ;   in Loop: Header=BB4_83 Depth=1
	s_and_saveexec_b64 s[40:41], s[20:21]
	s_cbranch_execz .LBB4_470
; %bb.403:                              ;   in Loop: Header=BB4_83 Depth=1
	s_mov_b64 s[66:67], exec
	v_mbcnt_lo_u32_b32 v1, s66, 0
	v_mbcnt_hi_u32_b32 v1, s67, v1
	v_cmp_eq_u32_e32 vcc, 0, v1
	;;#ASMSTART
	s_waitcnt lgkmcnt(0) vmcnt(0)
	;;#ASMEND
	s_and_saveexec_b64 s[42:43], vcc
	s_cbranch_execz .LBB4_405
; %bb.404:                              ;   in Loop: Header=BB4_83 Depth=1
	s_bcnt1_i32_b64 vcc_lo, s[66:67]
	v_mov_b32_e32 v2, vcc_lo
	v_mov_b32_e32 v3, v36
	ds_add_u64 v0, v[2:3]
	s_trap 2
.LBB4_405:                              ;   in Loop: Header=BB4_83 Depth=1
	s_or_b64 exec, exec, s[42:43]
	s_trap 2
	ds_read_b64 v[2:3], v0
	v_add_co_u32_e32 v28, vcc, v28, v30
	v_addc_co_u32_e32 v29, vcc, 0, v29, vcc
	s_waitcnt lgkmcnt(0)
	v_cmp_lt_u64_e32 vcc, v[2:3], v[28:29]
	s_and_saveexec_b64 s[42:43], vcc
	s_cbranch_execz .LBB4_469
; %bb.406:                              ;   in Loop: Header=BB4_83 Depth=1
	s_mov_b32 s76, 0
	s_mov_b64 s[66:67], 0
                                        ; implicit-def: $sgpr68_sgpr69
                                        ; implicit-def: $sgpr70_sgpr71
	s_branch .LBB4_408
.LBB4_407:                              ;   in Loop: Header=BB4_408 Depth=2
	s_or_b64 exec, exec, s[74:75]
	s_and_b64 vcc, exec, vcc
	s_or_b64 s[66:67], vcc, s[66:67]
	s_andn2_b64 vcc, s[68:69], exec
	s_and_b64 s[68:69], s[70:71], exec
	s_or_b64 s[68:69], vcc, s[68:69]
	s_andn2_b64 exec, exec, s[66:67]
	s_cbranch_execz .LBB4_467
.LBB4_408:                              ;   Parent Loop BB4_83 Depth=1
                                        ; =>  This Inner Loop Header: Depth=2
	s_add_i32 s76, s76, 1
	s_cmpk_lg_i32 s76, 0x2710
	s_cselect_b64 s[72:73], -1, 0
	s_and_b64 vcc, exec, s[72:73]
                                        ; implicit-def: $sgpr74_sgpr75
	s_cbranch_vccnz .LBB4_410
; %bb.409:                              ;   in Loop: Header=BB4_408 Depth=2
	s_trap 2
	ds_read_b64 v[2:3], v0
	s_andn2_b64 s[72:73], s[72:73], exec
	s_mov_b32 s76, 0
	s_mov_b64 s[74:75], -1
	s_waitcnt vmcnt(0) lgkmcnt(0)
	flat_load_dword v1, v[2:3] glc
	s_waitcnt vmcnt(0) lgkmcnt(0)
	buffer_invl2
	buffer_wbinvl1_vol
	v_cmp_eq_u32_e32 vcc, 0, v1
	s_and_b64 vcc, vcc, exec
	s_or_b64 s[72:73], s[72:73], vcc
.LBB4_410:                              ;   in Loop: Header=BB4_408 Depth=2
	s_andn2_b64 s[70:71], s[70:71], exec
	s_and_b64 s[74:75], s[74:75], exec
	s_mov_b64 vcc, -1
	s_or_b64 s[70:71], s[70:71], s[74:75]
	s_and_saveexec_b64 s[74:75], s[72:73]
	s_cbranch_execz .LBB4_407
; %bb.411:                              ;   in Loop: Header=BB4_408 Depth=2
	s_sleep 1
	s_trap 2
	ds_read_b64 v[2:3], v0
	s_andn2_b64 s[70:71], s[70:71], exec
	s_waitcnt lgkmcnt(0)
	v_cmp_ge_u64_e32 vcc, v[2:3], v[28:29]
	s_orn2_b64 vcc, vcc, exec
	s_branch .LBB4_407
.LBB4_412:                              ;   in Loop: Header=BB4_83 Depth=1
	s_or_b64 exec, exec, s[64:65]
	s_and_saveexec_b64 vcc, s[66:67]
	s_xor_b64 vcc, exec, vcc
	s_cbranch_execz .LBB4_414
; %bb.413:                              ;   in Loop: Header=BB4_83 Depth=1
	ds_write_b32 v0, v56
	s_trap 2
.LBB4_414:                              ;   in Loop: Header=BB4_83 Depth=1
	s_or_b64 exec, exec, s[42:43]
	;;#ASMSTART
	s_wakeup
	;;#ASMEND
.LBB4_415:                              ;   in Loop: Header=BB4_83 Depth=1
	s_or_b64 exec, exec, s[40:41]
.LBB4_416:                              ;   in Loop: Header=BB4_83 Depth=1
	s_andn2_saveexec_b64 vcc, s[38:39]
	s_cbranch_execz .LBB4_418
; %bb.417:                              ;   in Loop: Header=BB4_83 Depth=1
	;;#ASMSTART
	s_waitcnt lgkmcnt(0) vmcnt(0)
	;;#ASMEND
	s_barrier
.LBB4_418:                              ;   in Loop: Header=BB4_83 Depth=1
	s_or_b64 exec, exec, vcc
	v_and_b32_e32 v1, 16, v46
.LBB4_419:                              ;   in Loop: Header=BB4_83 Depth=1
	s_or_b64 exec, exec, s[36:37]
	v_cmp_ne_u32_e32 vcc, 0, v1
	s_xor_b64 s[36:37], s[16:17], -1
	s_and_b64 s[36:37], vcc, s[36:37]
	s_and_saveexec_b64 vcc, s[36:37]
	s_cbranch_execz .LBB4_421
; %bb.420:                              ;   in Loop: Header=BB4_83 Depth=1
	flat_store_dword v[52:53], v56
.LBB4_421:                              ;   in Loop: Header=BB4_83 Depth=1
	s_or_b64 exec, exec, vcc
	v_and_b32_e32 v1, 48, v46
	v_cmp_ne_u32_e32 vcc, 0, v1
	s_and_saveexec_b64 s[36:37], vcc
	s_cbranch_execz .LBB4_423
; %bb.422:                              ;   in Loop: Header=BB4_83 Depth=1
	v_add_co_u32_e32 v8, vcc, 1, v8
	v_addc_co_u32_e32 v9, vcc, 0, v9, vcc
	flat_store_dwordx2 v[22:23], v[8:9]
.LBB4_423:                              ;   in Loop: Header=BB4_83 Depth=1
	s_or_b64 exec, exec, s[36:37]
	v_mov_b32_e32 v1, v42
.LBB4_424:                              ;   in Loop: Header=BB4_83 Depth=1
	s_or_b64 exec, exec, s[62:63]
	s_mov_b64 vcc, 0
	s_and_saveexec_b64 s[38:39], s[30:31]
	s_cbranch_execz .LBB4_565
; %bb.425:                              ;   in Loop: Header=BB4_83 Depth=1
	v_and_b32_e32 v2, 12, v46
	v_cmp_ne_u32_e32 vcc, 0, v2
	s_mov_b64 s[40:41], -1
	s_and_saveexec_b64 s[36:37], vcc
	s_cbranch_execz .LBB4_437
; %bb.426:                              ;   in Loop: Header=BB4_83 Depth=1
	v_and_b32_e32 v2, 8, v46
	v_add_co_u32_e32 v14, vcc, v34, v2
	v_addc_co_u32_e32 v15, vcc, 0, v35, vcc
	v_add_co_u32_e32 v12, vcc, 1, v8
	v_addc_co_u32_e32 v13, vcc, 0, v9, vcc
	v_cmp_lt_u64_e32 vcc, v[14:15], v[12:13]
	v_mov_b32_e32 v3, 1
	s_and_saveexec_b64 s[40:41], vcc
	s_cbranch_execz .LBB4_436
; %bb.427:                              ;   in Loop: Header=BB4_83 Depth=1
	s_mov_b64 s[42:43], 0
	v_mov_b32_e32 v3, 0
                                        ; implicit-def: $sgpr62_sgpr63
	s_branch .LBB4_431
.LBB4_428:                              ;   in Loop: Header=BB4_431 Depth=2
	s_or_b64 exec, exec, s[70:71]
	v_mov_b32_e32 v10, 0
	s_orn2_b64 s[68:69], s[68:69], exec
.LBB4_429:                              ;   in Loop: Header=BB4_431 Depth=2
	s_or_b64 exec, exec, s[66:67]
	s_andn2_b64 vcc, s[62:63], exec
	s_and_b64 s[62:63], s[68:69], exec
	s_or_b64 s[62:63], vcc, s[62:63]
	v_mov_b32_e32 v3, v10
.LBB4_430:                              ;   in Loop: Header=BB4_431 Depth=2
	s_or_b64 exec, exec, s[64:65]
	s_waitcnt vmcnt(0) lgkmcnt(0)
	v_add_co_u32_e32 v14, vcc, v34, v2
	v_addc_co_u32_e32 v15, vcc, 0, v35, vcc
	v_cmp_ge_u64_e32 vcc, v[14:15], v[12:13]
	s_xor_b64 s[64:65], s[62:63], -1
	s_or_b64 vcc, s[64:65], vcc
	s_and_b64 vcc, exec, vcc
	s_or_b64 s[42:43], vcc, s[42:43]
	s_andn2_b64 exec, exec, s[42:43]
	s_cbranch_execz .LBB4_435
.LBB4_431:                              ;   Parent Loop BB4_83 Depth=1
                                        ; =>  This Inner Loop Header: Depth=2
	s_sleep 1
	flat_load_dwordx2 v[34:35], v[22:23] glc
	v_and_b32_e32 v10, 64, v46
	v_cmp_eq_u32_e32 vcc, 0, v10
	s_andn2_b64 s[62:63], s[62:63], exec
	s_and_saveexec_b64 s[64:65], vcc
	s_cbranch_execz .LBB4_430
; %bb.432:                              ;   in Loop: Header=BB4_431 Depth=2
	v_add_u32_e32 v10, 1, v3
	v_cmp_lt_i32_e32 vcc, s81, v3
	s_mov_b64 s[68:69], -1
	s_and_saveexec_b64 s[66:67], vcc
	s_cbranch_execz .LBB4_429
; %bb.433:                              ;   in Loop: Header=BB4_431 Depth=2
	s_trap 2
	ds_read_b64 v[14:15], v0
	s_waitcnt vmcnt(0) lgkmcnt(0)
	flat_load_dword v3, v[14:15] glc
	s_waitcnt vmcnt(0) lgkmcnt(0)
	buffer_invl2
	buffer_wbinvl1_vol
	v_cmp_ne_u32_e32 vcc, 0, v3
	s_and_saveexec_b64 s[70:71], vcc
	s_cbranch_execz .LBB4_428
; %bb.434:                              ;   in Loop: Header=BB4_431 Depth=2
	v_or_b32_e32 v46, 64, v46
	s_xor_b64 s[68:69], exec, -1
	ds_write_b32 v0, v3
	s_trap 2
	s_branch .LBB4_428
.LBB4_435:                              ;   in Loop: Header=BB4_83 Depth=1
	s_or_b64 exec, exec, s[42:43]
	v_and_b32_e32 v3, 12, v46
.LBB4_436:                              ;   in Loop: Header=BB4_83 Depth=1
	s_or_b64 exec, exec, s[40:41]
	v_cmp_eq_u32_e32 vcc, 0, v3
	s_orn2_b64 s[40:41], vcc, exec
	;;#ASMSTART
	s_wakeup
	;;#ASMEND
.LBB4_437:                              ;   in Loop: Header=BB4_83 Depth=1
	s_or_b64 exec, exec, s[36:37]
	v_sub_u32_e32 v1, v19, v1
	s_xor_b64 vcc, s[40:41], -1
	v_min_i32_e32 v2, v42, v1
	s_and_saveexec_b64 s[40:41], vcc
	s_cbranch_execz .LBB4_455
; %bb.438:                              ;   in Loop: Header=BB4_83 Depth=1
	v_and_b32_e32 v1, 0x108, v46
	v_cmp_ne_u32_e32 vcc, s82, v1
	v_and_b32_e32 v10, 7, v8
	s_and_saveexec_b64 s[36:37], vcc
	s_xor_b64 vcc, exec, s[36:37]
                                        ; implicit-def: $vgpr12_vgpr13
; %bb.439:                              ;   in Loop: Header=BB4_83 Depth=1
	v_mov_b32_e32 v13, v36
; %bb.440:                              ;   in Loop: Header=BB4_83 Depth=1
	s_andn2_saveexec_b64 vcc, vcc
	s_cbranch_execz .LBB4_442
; %bb.441:                              ;   in Loop: Header=BB4_83 Depth=1
	v_mov_b32_e32 v13, v36
	v_mad_u64_u32 v[14:15], s[36:37], v10, 24, v[6:7]
	v_ashrrev_i32_e32 v3, 31, v2
	flat_store_dwordx2 v[14:15], v[2:3] offset:8
.LBB4_442:                              ;   in Loop: Header=BB4_83 Depth=1
	s_or_b64 exec, exec, vcc
	v_and_b32_e32 v1, 0x100, v46
	v_cmp_ne_u32_e32 vcc, 0, v1
	s_mov_b64 s[36:37], -1
                                        ; implicit-def: $vgpr14_vgpr15
	s_and_saveexec_b64 s[42:43], vcc
	s_cbranch_execz .LBB4_446
; %bb.443:                              ;   in Loop: Header=BB4_83 Depth=1
	v_mad_u64_u32 v[42:43], vcc, v10, 24, v[6:7]
	v_mov_b32_e32 v12, v43
	v_mad_u64_u32 v[14:15], vcc, v13, 24, v[12:13]
	v_mov_b32_e32 v43, v14
	flat_load_dword v1, v[42:43]
                                        ; implicit-def: $vgpr14_vgpr15
	s_waitcnt vmcnt(0) lgkmcnt(0)
	v_cmp_ne_u32_e32 vcc, 1, v1
	v_cmp_eq_u32_e64 s[36:37], 1, v1
	s_and_saveexec_b64 s[62:63], s[36:37]
	s_cbranch_execz .LBB4_445
; %bb.444:                              ;   in Loop: Header=BB4_83 Depth=1
	flat_load_dword v14, v[42:43] offset:4 glc
	s_waitcnt vmcnt(0) lgkmcnt(0)
	v_ashrrev_i32_e32 v15, 31, v14
.LBB4_445:                              ;   in Loop: Header=BB4_83 Depth=1
	s_or_b64 exec, exec, s[62:63]
	s_orn2_b64 s[36:37], vcc, exec
.LBB4_446:                              ;   in Loop: Header=BB4_83 Depth=1
	s_or_b64 exec, exec, s[42:43]
	s_and_saveexec_b64 vcc, s[36:37]
; %bb.447:                              ;   in Loop: Header=BB4_83 Depth=1
	v_accvgpr_read_b32 v3, a9
	v_mul_lo_u32 v1, v13, v24
	v_mul_lo_u32 v3, v10, v3
	v_mad_u64_u32 v[14:15], s[36:37], v10, v24, 0
	v_add3_u32 v15, v15, v3, v1
; %bb.448:                              ;   in Loop: Header=BB4_83 Depth=1
	s_or_b64 exec, exec, vcc
	v_add_co_u32_e32 v12, vcc, v26, v14
	v_addc_co_u32_e32 v13, vcc, v27, v15, vcc
	v_and_b32_e32 v1, 0x2000, v46
	v_cmp_ne_u32_e32 vcc, 0, v1
	s_trap 2
	ds_write_b64 v0, v[12:13]
	s_and_saveexec_b64 s[36:37], vcc
	s_cbranch_execz .LBB4_450
; %bb.449:                              ;   in Loop: Header=BB4_83 Depth=1
	ds_read_b64 v[12:13], v0 offset:584
	s_waitcnt lgkmcnt(0)
	v_add_co_u32_e32 v12, vcc, 1, v12
	v_addc_co_u32_e32 v13, vcc, 0, v13, vcc
	ds_write_b64 v0, v[12:13] offset:584
.LBB4_450:                              ;   in Loop: Header=BB4_83 Depth=1
	s_or_b64 exec, exec, s[36:37]
	v_add_co_u32_e32 v8, vcc, 1, v8
	v_addc_co_u32_e32 v9, vcc, 0, v9, vcc
	s_or_b64 exec, exec, s[40:41]
	s_and_saveexec_b64 s[36:37], s[14:15]
	s_cbranch_execnz .LBB4_456
.LBB4_451:                              ;   in Loop: Header=BB4_83 Depth=1
	s_or_b64 exec, exec, s[36:37]
                                        ; implicit-def: $vgpr1
	s_and_saveexec_b64 vcc, s[28:29]
	s_xor_b64 s[36:37], exec, vcc
	s_cbranch_execz .LBB4_524
.LBB4_452:                              ;   in Loop: Header=BB4_83 Depth=1
	s_trap 2
	ds_read_b32 v3, v0
	v_cmp_lt_i32_e32 vcc, 0, v2
	v_and_b32_e32 v2, 16, v46
	v_and_b32_e32 v1, 16, v46
	s_waitcnt lgkmcnt(0)
	v_readfirstlane_b32 s40, v3
	s_cmp_eq_u32 s40, 0
	s_cselect_b64 s[40:41], -1, 0
	s_and_b64 s[40:41], vcc, s[40:41]
	v_cmp_ne_u32_e32 vcc, 0, v2
	s_and_b64 s[40:41], vcc, s[40:41]
	s_and_saveexec_b64 vcc, s[40:41]
	s_cbranch_execz .LBB4_454
; %bb.453:                              ;   in Loop: Header=BB4_83 Depth=1
	v_mov_b32_e32 v1, 1
	s_waitcnt vmcnt(0)
	buffer_wbinvl1_vol
.LBB4_454:                              ;   in Loop: Header=BB4_83 Depth=1
	s_or_b64 exec, exec, vcc
	s_andn2_saveexec_b64 s[36:37], s[36:37]
	s_cbranch_execz .LBB4_562
	s_branch .LBB4_525
.LBB4_455:                              ;   in Loop: Header=BB4_83 Depth=1
	s_or_b64 exec, exec, s[40:41]
	s_and_saveexec_b64 s[36:37], s[14:15]
	s_cbranch_execz .LBB4_451
.LBB4_456:                              ;   in Loop: Header=BB4_83 Depth=1
	s_and_saveexec_b64 vcc, s[52:53]
	s_xor_b64 s[40:41], exec, vcc
	s_cbranch_execz .LBB4_521
; %bb.457:                              ;   in Loop: Header=BB4_83 Depth=1
	s_and_saveexec_b64 s[42:43], s[20:21]
	s_cbranch_execz .LBB4_520
; %bb.458:                              ;   in Loop: Header=BB4_83 Depth=1
	s_mov_b64 s[64:65], exec
	v_mbcnt_lo_u32_b32 v1, s64, 0
	v_mbcnt_hi_u32_b32 v1, s65, v1
	v_cmp_eq_u32_e32 vcc, 0, v1
	s_waitcnt vmcnt(0) lgkmcnt(0)
	buffer_wbinvl1_vol
	s_and_saveexec_b64 s[62:63], vcc
	s_cbranch_execz .LBB4_460
; %bb.459:                              ;   in Loop: Header=BB4_83 Depth=1
	s_bcnt1_i32_b64 vcc_lo, s[64:65]
	v_mov_b32_e32 v12, vcc_lo
	v_mov_b32_e32 v13, v36
	ds_add_u64 v0, v[12:13]
	s_trap 2
.LBB4_460:                              ;   in Loop: Header=BB4_83 Depth=1
	s_or_b64 exec, exec, s[62:63]
	s_trap 2
	ds_read_b64 v[12:13], v0
	v_add_co_u32_e32 v28, vcc, v28, v30
	v_addc_co_u32_e32 v29, vcc, 0, v29, vcc
	s_waitcnt lgkmcnt(0)
	v_cmp_lt_u64_e32 vcc, v[12:13], v[28:29]
	s_and_saveexec_b64 s[62:63], vcc
	s_cbranch_execz .LBB4_519
; %bb.461:                              ;   in Loop: Header=BB4_83 Depth=1
	s_mov_b32 s74, 0
	s_mov_b64 s[64:65], 0
                                        ; implicit-def: $sgpr66_sgpr67
                                        ; implicit-def: $sgpr68_sgpr69
	s_branch .LBB4_463
.LBB4_462:                              ;   in Loop: Header=BB4_463 Depth=2
	s_or_b64 exec, exec, s[72:73]
	s_and_b64 vcc, exec, vcc
	s_or_b64 s[64:65], vcc, s[64:65]
	s_andn2_b64 vcc, s[66:67], exec
	s_and_b64 s[66:67], s[68:69], exec
	s_or_b64 s[66:67], vcc, s[66:67]
	s_andn2_b64 exec, exec, s[64:65]
	s_cbranch_execz .LBB4_517
.LBB4_463:                              ;   Parent Loop BB4_83 Depth=1
                                        ; =>  This Inner Loop Header: Depth=2
	s_add_i32 s74, s74, 1
	s_cmpk_lg_i32 s74, 0x2710
	s_cselect_b64 s[70:71], -1, 0
	s_and_b64 vcc, exec, s[70:71]
                                        ; implicit-def: $sgpr72_sgpr73
	s_cbranch_vccnz .LBB4_465
; %bb.464:                              ;   in Loop: Header=BB4_463 Depth=2
	s_trap 2
	ds_read_b64 v[12:13], v0
	s_andn2_b64 s[70:71], s[70:71], exec
	s_mov_b32 s74, 0
	s_mov_b64 s[72:73], -1
	s_waitcnt lgkmcnt(0)
	flat_load_dword v1, v[12:13] glc
	s_waitcnt vmcnt(0) lgkmcnt(0)
	buffer_invl2
	buffer_wbinvl1_vol
	v_cmp_eq_u32_e32 vcc, 0, v1
	s_and_b64 vcc, vcc, exec
	s_or_b64 s[70:71], s[70:71], vcc
.LBB4_465:                              ;   in Loop: Header=BB4_463 Depth=2
	s_andn2_b64 s[68:69], s[68:69], exec
	s_and_b64 s[72:73], s[72:73], exec
	s_mov_b64 vcc, -1
	s_or_b64 s[68:69], s[68:69], s[72:73]
	s_and_saveexec_b64 s[72:73], s[70:71]
	s_cbranch_execz .LBB4_462
; %bb.466:                              ;   in Loop: Header=BB4_463 Depth=2
	s_sleep 1
	s_trap 2
	ds_read_b64 v[12:13], v0
	s_andn2_b64 s[68:69], s[68:69], exec
	s_waitcnt lgkmcnt(0)
	v_cmp_ge_u64_e32 vcc, v[12:13], v[28:29]
	s_orn2_b64 vcc, vcc, exec
	s_branch .LBB4_462
.LBB4_467:                              ;   in Loop: Header=BB4_83 Depth=1
	s_or_b64 exec, exec, s[66:67]
	s_and_saveexec_b64 vcc, s[68:69]
	s_xor_b64 vcc, exec, vcc
	s_cbranch_execz .LBB4_469
; %bb.468:                              ;   in Loop: Header=BB4_83 Depth=1
	ds_write_b32 v0, v56
	s_trap 2
.LBB4_469:                              ;   in Loop: Header=BB4_83 Depth=1
	s_or_b64 exec, exec, s[42:43]
	;;#ASMSTART
	s_wakeup
	;;#ASMEND
.LBB4_470:                              ;   in Loop: Header=BB4_83 Depth=1
	s_or_b64 exec, exec, s[40:41]
.LBB4_471:                              ;   in Loop: Header=BB4_83 Depth=1
	s_andn2_saveexec_b64 vcc, s[38:39]
	s_cbranch_execz .LBB4_473
; %bb.472:                              ;   in Loop: Header=BB4_83 Depth=1
	;;#ASMSTART
	s_waitcnt lgkmcnt(0) vmcnt(0)
	;;#ASMEND
	s_barrier
.LBB4_473:                              ;   in Loop: Header=BB4_83 Depth=1
	s_or_b64 exec, exec, vcc
	v_and_b32_e32 v1, 16, v46
	s_or_b64 exec, exec, s[36:37]
	v_cmp_ne_u32_e32 vcc, 0, v1
	s_and_saveexec_b64 s[36:37], vcc
	s_cbranch_execz .LBB4_477
.LBB4_474:                              ;   in Loop: Header=BB4_83 Depth=1
	s_and_saveexec_b64 vcc, s[18:19]
	s_cbranch_execz .LBB4_476
; %bb.475:                              ;   in Loop: Header=BB4_83 Depth=1
	flat_store_dword v[52:53], v56
.LBB4_476:                              ;   in Loop: Header=BB4_83 Depth=1
	s_or_b64 exec, exec, vcc
	v_add_co_u32_e32 v8, vcc, 1, v8
	v_addc_co_u32_e32 v9, vcc, 0, v9, vcc
	flat_store_dwordx2 v[22:23], v[8:9]
.LBB4_477:                              ;   in Loop: Header=BB4_83 Depth=1
	s_or_b64 exec, exec, s[36:37]
	v_mov_b32_e32 v1, v42
.LBB4_478:                              ;   in Loop: Header=BB4_83 Depth=1
	s_or_b64 exec, exec, s[64:65]
	s_mov_b64 vcc, 0
	s_mov_b64 s[40:41], s[58:59]
	s_and_saveexec_b64 s[38:39], s[30:31]
	s_cbranch_execz .LBB4_614
; %bb.479:                              ;   in Loop: Header=BB4_83 Depth=1
	v_and_b32_e32 v2, 8, v46
	v_cmp_ne_u32_e32 vcc, 0, v2
	s_mov_b64 s[40:41], -1
	s_and_saveexec_b64 s[36:37], vcc
	s_cbranch_execz .LBB4_491
; %bb.480:                              ;   in Loop: Header=BB4_83 Depth=1
	v_add_co_u32_e32 v12, vcc, 8, v34
	v_addc_co_u32_e32 v13, vcc, 0, v35, vcc
	v_add_co_u32_e32 v2, vcc, 1, v8
	v_addc_co_u32_e32 v3, vcc, 0, v9, vcc
	v_cmp_lt_u64_e32 vcc, v[12:13], v[2:3]
	v_mov_b32_e32 v10, 1
	s_and_saveexec_b64 s[40:41], vcc
	s_cbranch_execz .LBB4_490
; %bb.481:                              ;   in Loop: Header=BB4_83 Depth=1
	s_mov_b64 s[42:43], 0
	v_mov_b32_e32 v10, 0
                                        ; implicit-def: $sgpr64_sgpr65
	s_branch .LBB4_485
.LBB4_482:                              ;   in Loop: Header=BB4_485 Depth=2
	s_or_b64 exec, exec, s[72:73]
	v_mov_b32_e32 v12, 0
	s_orn2_b64 s[70:71], s[70:71], exec
.LBB4_483:                              ;   in Loop: Header=BB4_485 Depth=2
	s_or_b64 exec, exec, s[68:69]
	s_andn2_b64 vcc, s[64:65], exec
	s_and_b64 s[64:65], s[70:71], exec
	s_or_b64 s[64:65], vcc, s[64:65]
	v_mov_b32_e32 v10, v12
.LBB4_484:                              ;   in Loop: Header=BB4_485 Depth=2
	s_or_b64 exec, exec, s[66:67]
	s_waitcnt vmcnt(0) lgkmcnt(0)
	v_add_co_u32_e32 v12, vcc, 8, v34
	v_addc_co_u32_e32 v13, vcc, 0, v35, vcc
	v_cmp_ge_u64_e32 vcc, v[12:13], v[2:3]
	s_xor_b64 s[66:67], s[64:65], -1
	s_or_b64 vcc, s[66:67], vcc
	s_and_b64 vcc, exec, vcc
	s_or_b64 s[42:43], vcc, s[42:43]
	s_andn2_b64 exec, exec, s[42:43]
	s_cbranch_execz .LBB4_489
.LBB4_485:                              ;   Parent Loop BB4_83 Depth=1
                                        ; =>  This Inner Loop Header: Depth=2
	s_sleep 1
	flat_load_dwordx2 v[34:35], v[22:23] glc
	v_and_b32_e32 v12, 64, v46
	v_cmp_eq_u32_e32 vcc, 0, v12
	s_andn2_b64 s[64:65], s[64:65], exec
	s_and_saveexec_b64 s[66:67], vcc
	s_cbranch_execz .LBB4_484
; %bb.486:                              ;   in Loop: Header=BB4_485 Depth=2
	v_add_u32_e32 v12, 1, v10
	v_cmp_lt_i32_e32 vcc, s81, v10
	s_mov_b64 s[70:71], -1
	s_and_saveexec_b64 s[68:69], vcc
	s_cbranch_execz .LBB4_483
; %bb.487:                              ;   in Loop: Header=BB4_485 Depth=2
	s_trap 2
	ds_read_b64 v[12:13], v0
	s_waitcnt vmcnt(0) lgkmcnt(0)
	flat_load_dword v10, v[12:13] glc
	s_waitcnt vmcnt(0) lgkmcnt(0)
	buffer_invl2
	buffer_wbinvl1_vol
	v_cmp_ne_u32_e32 vcc, 0, v10
	s_and_saveexec_b64 s[72:73], vcc
	s_cbranch_execz .LBB4_482
; %bb.488:                              ;   in Loop: Header=BB4_485 Depth=2
	v_or_b32_e32 v46, 64, v46
	s_xor_b64 s[70:71], exec, -1
	ds_write_b32 v0, v10
	s_trap 2
	s_branch .LBB4_482
.LBB4_489:                              ;   in Loop: Header=BB4_83 Depth=1
	s_or_b64 exec, exec, s[42:43]
	v_and_b32_e32 v10, 8, v46
.LBB4_490:                              ;   in Loop: Header=BB4_83 Depth=1
	s_or_b64 exec, exec, s[40:41]
	v_cmp_eq_u32_e32 vcc, 0, v10
	s_orn2_b64 s[40:41], vcc, exec
	;;#ASMSTART
	s_wakeup
	;;#ASMEND
.LBB4_491:                              ;   in Loop: Header=BB4_83 Depth=1
	s_or_b64 exec, exec, s[36:37]
	v_sub_u32_e32 v1, v19, v1
	s_xor_b64 vcc, s[40:41], -1
	v_min_i32_e32 v2, v42, v1
	s_and_saveexec_b64 s[40:41], vcc
	s_cbranch_execz .LBB4_505
; %bb.492:                              ;   in Loop: Header=BB4_83 Depth=1
	v_and_b32_e32 v1, 0x100, v46
	v_cmp_ne_u32_e32 vcc, 0, v1
	v_and_b32_e32 v1, 7, v8
	s_mov_b64 s[36:37], -1
                                        ; implicit-def: $vgpr12_vgpr13
	s_and_saveexec_b64 s[42:43], vcc
	s_cbranch_execz .LBB4_496
; %bb.493:                              ;   in Loop: Header=BB4_83 Depth=1
	v_mad_u64_u32 v[14:15], vcc, v1, 24, v[6:7]
	flat_load_dword v10, v[14:15]
	v_ashrrev_i32_e32 v3, 31, v2
	flat_store_dwordx2 v[14:15], v[2:3] offset:8
                                        ; implicit-def: $vgpr12_vgpr13
	s_waitcnt vmcnt(0) lgkmcnt(0)
	v_cmp_ne_u32_e32 vcc, 1, v10
	v_cmp_eq_u32_e64 s[36:37], 1, v10
	s_and_saveexec_b64 s[64:65], s[36:37]
	s_cbranch_execz .LBB4_495
; %bb.494:                              ;   in Loop: Header=BB4_83 Depth=1
	flat_load_dword v12, v[14:15] offset:4 glc
	s_waitcnt vmcnt(0) lgkmcnt(0)
	v_ashrrev_i32_e32 v13, 31, v12
.LBB4_495:                              ;   in Loop: Header=BB4_83 Depth=1
	s_or_b64 exec, exec, s[64:65]
	s_orn2_b64 s[36:37], vcc, exec
.LBB4_496:                              ;   in Loop: Header=BB4_83 Depth=1
	s_or_b64 exec, exec, s[42:43]
	s_and_saveexec_b64 vcc, s[36:37]
; %bb.497:                              ;   in Loop: Header=BB4_83 Depth=1
	v_mad_i64_i32 v[12:13], s[36:37], v1, v24, 0
; %bb.498:                              ;   in Loop: Header=BB4_83 Depth=1
	s_or_b64 exec, exec, vcc
	v_add_co_u32_e32 v12, vcc, v26, v12
	v_addc_co_u32_e32 v13, vcc, v27, v13, vcc
	v_and_b32_e32 v1, 0x2000, v46
	v_cmp_ne_u32_e32 vcc, 0, v1
	ds_write_b64 v0, v[12:13] offset:792
	s_and_saveexec_b64 s[36:37], vcc
	s_cbranch_execz .LBB4_500
; %bb.499:                              ;   in Loop: Header=BB4_83 Depth=1
	ds_read_b64 v[12:13], v0 offset:584
	s_waitcnt lgkmcnt(0)
	v_add_co_u32_e32 v12, vcc, 1, v12
	v_addc_co_u32_e32 v13, vcc, 0, v13, vcc
	ds_write_b64 v0, v[12:13] offset:584
.LBB4_500:                              ;   in Loop: Header=BB4_83 Depth=1
	s_or_b64 exec, exec, s[36:37]
	v_add_co_u32_e32 v8, vcc, 1, v8
	v_addc_co_u32_e32 v9, vcc, 0, v9, vcc
	s_or_b64 exec, exec, s[40:41]
	s_and_saveexec_b64 s[36:37], s[14:15]
	s_cbranch_execnz .LBB4_506
.LBB4_501:                              ;   in Loop: Header=BB4_83 Depth=1
	s_or_b64 exec, exec, s[36:37]
                                        ; implicit-def: $vgpr1
	s_and_saveexec_b64 vcc, s[28:29]
	s_xor_b64 s[36:37], exec, vcc
	s_cbranch_execz .LBB4_543
.LBB4_502:                              ;   in Loop: Header=BB4_83 Depth=1
	s_trap 2
	ds_read_b32 v3, v0
	v_cmp_lt_i32_e32 vcc, 0, v2
	v_and_b32_e32 v2, 16, v46
	v_and_b32_e32 v1, 16, v46
	s_waitcnt lgkmcnt(0)
	v_readfirstlane_b32 s40, v3
	s_cmp_eq_u32 s40, 0
	s_cselect_b64 s[40:41], -1, 0
	s_and_b64 s[40:41], vcc, s[40:41]
	v_cmp_ne_u32_e32 vcc, 0, v2
	s_and_b64 s[40:41], vcc, s[40:41]
	s_and_saveexec_b64 vcc, s[40:41]
	s_cbranch_execz .LBB4_504
; %bb.503:                              ;   in Loop: Header=BB4_83 Depth=1
	v_mov_b32_e32 v1, 1
	s_waitcnt vmcnt(0)
	buffer_wbinvl1_vol
.LBB4_504:                              ;   in Loop: Header=BB4_83 Depth=1
	s_or_b64 exec, exec, vcc
	s_andn2_saveexec_b64 s[36:37], s[36:37]
	s_cbranch_execz .LBB4_611
	s_branch .LBB4_544
.LBB4_505:                              ;   in Loop: Header=BB4_83 Depth=1
	s_or_b64 exec, exec, s[40:41]
	s_and_saveexec_b64 s[36:37], s[14:15]
	s_cbranch_execz .LBB4_501
.LBB4_506:                              ;   in Loop: Header=BB4_83 Depth=1
	s_and_saveexec_b64 vcc, s[52:53]
	s_xor_b64 s[40:41], exec, vcc
	s_cbranch_execz .LBB4_540
; %bb.507:                              ;   in Loop: Header=BB4_83 Depth=1
	s_and_saveexec_b64 s[42:43], s[20:21]
	s_cbranch_execz .LBB4_539
; %bb.508:                              ;   in Loop: Header=BB4_83 Depth=1
	s_mov_b64 s[66:67], exec
	v_mbcnt_lo_u32_b32 v1, s66, 0
	v_mbcnt_hi_u32_b32 v1, s67, v1
	v_cmp_eq_u32_e32 vcc, 0, v1
	s_waitcnt vmcnt(0) lgkmcnt(0)
	buffer_wbinvl1_vol
	s_and_saveexec_b64 s[64:65], vcc
	s_cbranch_execz .LBB4_510
; %bb.509:                              ;   in Loop: Header=BB4_83 Depth=1
	s_bcnt1_i32_b64 vcc_lo, s[66:67]
	v_mov_b32_e32 v12, vcc_lo
	v_mov_b32_e32 v13, v36
	ds_add_u64 v0, v[12:13]
	s_trap 2
.LBB4_510:                              ;   in Loop: Header=BB4_83 Depth=1
	s_or_b64 exec, exec, s[64:65]
	s_trap 2
	ds_read_b64 v[12:13], v0
	v_add_co_u32_e32 v28, vcc, v28, v30
	v_addc_co_u32_e32 v29, vcc, 0, v29, vcc
	s_waitcnt lgkmcnt(0)
	v_cmp_lt_u64_e32 vcc, v[12:13], v[28:29]
	s_and_saveexec_b64 s[64:65], vcc
	s_cbranch_execz .LBB4_538
; %bb.511:                              ;   in Loop: Header=BB4_83 Depth=1
	s_mov_b32 s76, 0
	s_mov_b64 s[66:67], 0
                                        ; implicit-def: $sgpr68_sgpr69
                                        ; implicit-def: $sgpr70_sgpr71
	s_branch .LBB4_513
.LBB4_512:                              ;   in Loop: Header=BB4_513 Depth=2
	s_or_b64 exec, exec, s[74:75]
	s_and_b64 vcc, exec, vcc
	s_or_b64 s[66:67], vcc, s[66:67]
	s_andn2_b64 vcc, s[68:69], exec
	s_and_b64 s[68:69], s[70:71], exec
	s_or_b64 s[68:69], vcc, s[68:69]
	s_andn2_b64 exec, exec, s[66:67]
	s_cbranch_execz .LBB4_536
.LBB4_513:                              ;   Parent Loop BB4_83 Depth=1
                                        ; =>  This Inner Loop Header: Depth=2
	s_add_i32 s76, s76, 1
	s_cmpk_lg_i32 s76, 0x2710
	s_cselect_b64 s[72:73], -1, 0
	s_and_b64 vcc, exec, s[72:73]
                                        ; implicit-def: $sgpr74_sgpr75
	s_cbranch_vccnz .LBB4_515
; %bb.514:                              ;   in Loop: Header=BB4_513 Depth=2
	s_trap 2
	ds_read_b64 v[12:13], v0
	s_andn2_b64 s[72:73], s[72:73], exec
	s_mov_b32 s76, 0
	s_mov_b64 s[74:75], -1
	s_waitcnt lgkmcnt(0)
	flat_load_dword v1, v[12:13] glc
	s_waitcnt vmcnt(0) lgkmcnt(0)
	buffer_invl2
	buffer_wbinvl1_vol
	v_cmp_eq_u32_e32 vcc, 0, v1
	s_and_b64 vcc, vcc, exec
	s_or_b64 s[72:73], s[72:73], vcc
.LBB4_515:                              ;   in Loop: Header=BB4_513 Depth=2
	s_andn2_b64 s[70:71], s[70:71], exec
	s_and_b64 s[74:75], s[74:75], exec
	s_mov_b64 vcc, -1
	s_or_b64 s[70:71], s[70:71], s[74:75]
	s_and_saveexec_b64 s[74:75], s[72:73]
	s_cbranch_execz .LBB4_512
; %bb.516:                              ;   in Loop: Header=BB4_513 Depth=2
	s_sleep 1
	s_trap 2
	ds_read_b64 v[12:13], v0
	s_andn2_b64 s[70:71], s[70:71], exec
	s_waitcnt lgkmcnt(0)
	v_cmp_ge_u64_e32 vcc, v[12:13], v[28:29]
	s_orn2_b64 vcc, vcc, exec
	s_branch .LBB4_512
.LBB4_517:                              ;   in Loop: Header=BB4_83 Depth=1
	s_or_b64 exec, exec, s[64:65]
	s_and_saveexec_b64 vcc, s[66:67]
	s_xor_b64 vcc, exec, vcc
	s_cbranch_execz .LBB4_519
; %bb.518:                              ;   in Loop: Header=BB4_83 Depth=1
	ds_write_b32 v0, v56
	s_trap 2
.LBB4_519:                              ;   in Loop: Header=BB4_83 Depth=1
	s_or_b64 exec, exec, s[62:63]
	;;#ASMSTART
	s_wakeup
	;;#ASMEND
.LBB4_520:                              ;   in Loop: Header=BB4_83 Depth=1
	s_or_b64 exec, exec, s[42:43]
.LBB4_521:                              ;   in Loop: Header=BB4_83 Depth=1
	s_andn2_saveexec_b64 vcc, s[40:41]
	s_cbranch_execz .LBB4_523
; %bb.522:                              ;   in Loop: Header=BB4_83 Depth=1
	s_waitcnt vmcnt(0) lgkmcnt(0)
	buffer_wbinvl1_vol
	s_barrier
.LBB4_523:                              ;   in Loop: Header=BB4_83 Depth=1
	s_or_b64 exec, exec, vcc
	s_or_b64 exec, exec, s[36:37]
                                        ; implicit-def: $vgpr1
	s_and_saveexec_b64 vcc, s[28:29]
	s_xor_b64 s[36:37], exec, vcc
	s_cbranch_execnz .LBB4_452
.LBB4_524:                              ;   in Loop: Header=BB4_83 Depth=1
	s_andn2_saveexec_b64 s[36:37], s[36:37]
	s_cbranch_execz .LBB4_562
.LBB4_525:                              ;   in Loop: Header=BB4_83 Depth=1
	s_and_saveexec_b64 vcc, s[52:53]
	s_xor_b64 s[40:41], exec, vcc
	s_cbranch_execz .LBB4_559
; %bb.526:                              ;   in Loop: Header=BB4_83 Depth=1
	s_and_saveexec_b64 s[42:43], s[20:21]
	s_cbranch_execz .LBB4_558
; %bb.527:                              ;   in Loop: Header=BB4_83 Depth=1
	s_mov_b64 s[64:65], exec
	v_mbcnt_lo_u32_b32 v1, s64, 0
	v_mbcnt_hi_u32_b32 v1, s65, v1
	v_cmp_eq_u32_e32 vcc, 0, v1
	;;#ASMSTART
	s_waitcnt lgkmcnt(0) vmcnt(0)
	;;#ASMEND
	s_and_saveexec_b64 s[62:63], vcc
	s_cbranch_execz .LBB4_529
; %bb.528:                              ;   in Loop: Header=BB4_83 Depth=1
	s_bcnt1_i32_b64 vcc_lo, s[64:65]
	v_mov_b32_e32 v2, vcc_lo
	v_mov_b32_e32 v3, v36
	ds_add_u64 v0, v[2:3]
	s_trap 2
.LBB4_529:                              ;   in Loop: Header=BB4_83 Depth=1
	s_or_b64 exec, exec, s[62:63]
	s_trap 2
	ds_read_b64 v[2:3], v0
	v_add_co_u32_e32 v28, vcc, v28, v30
	v_addc_co_u32_e32 v29, vcc, 0, v29, vcc
	s_waitcnt lgkmcnt(0)
	v_cmp_lt_u64_e32 vcc, v[2:3], v[28:29]
	s_and_saveexec_b64 s[62:63], vcc
	s_cbranch_execz .LBB4_557
; %bb.530:                              ;   in Loop: Header=BB4_83 Depth=1
	s_mov_b32 s74, 0
	s_mov_b64 s[64:65], 0
                                        ; implicit-def: $sgpr66_sgpr67
                                        ; implicit-def: $sgpr68_sgpr69
	s_branch .LBB4_532
.LBB4_531:                              ;   in Loop: Header=BB4_532 Depth=2
	s_or_b64 exec, exec, s[72:73]
	s_and_b64 vcc, exec, vcc
	s_or_b64 s[64:65], vcc, s[64:65]
	s_andn2_b64 vcc, s[66:67], exec
	s_and_b64 s[66:67], s[68:69], exec
	s_or_b64 s[66:67], vcc, s[66:67]
	s_andn2_b64 exec, exec, s[64:65]
	s_cbranch_execz .LBB4_555
.LBB4_532:                              ;   Parent Loop BB4_83 Depth=1
                                        ; =>  This Inner Loop Header: Depth=2
	s_add_i32 s74, s74, 1
	s_cmpk_lg_i32 s74, 0x2710
	s_cselect_b64 s[70:71], -1, 0
	s_and_b64 vcc, exec, s[70:71]
                                        ; implicit-def: $sgpr72_sgpr73
	s_cbranch_vccnz .LBB4_534
; %bb.533:                              ;   in Loop: Header=BB4_532 Depth=2
	s_trap 2
	ds_read_b64 v[2:3], v0
	s_andn2_b64 s[70:71], s[70:71], exec
	s_mov_b32 s74, 0
	s_mov_b64 s[72:73], -1
	s_waitcnt vmcnt(0) lgkmcnt(0)
	flat_load_dword v1, v[2:3] glc
	s_waitcnt vmcnt(0) lgkmcnt(0)
	buffer_invl2
	buffer_wbinvl1_vol
	v_cmp_eq_u32_e32 vcc, 0, v1
	s_and_b64 vcc, vcc, exec
	s_or_b64 s[70:71], s[70:71], vcc
.LBB4_534:                              ;   in Loop: Header=BB4_532 Depth=2
	s_andn2_b64 s[68:69], s[68:69], exec
	s_and_b64 s[72:73], s[72:73], exec
	s_mov_b64 vcc, -1
	s_or_b64 s[68:69], s[68:69], s[72:73]
	s_and_saveexec_b64 s[72:73], s[70:71]
	s_cbranch_execz .LBB4_531
; %bb.535:                              ;   in Loop: Header=BB4_532 Depth=2
	s_sleep 1
	s_trap 2
	ds_read_b64 v[2:3], v0
	s_andn2_b64 s[68:69], s[68:69], exec
	s_waitcnt lgkmcnt(0)
	v_cmp_ge_u64_e32 vcc, v[2:3], v[28:29]
	s_orn2_b64 vcc, vcc, exec
	s_branch .LBB4_531
.LBB4_536:                              ;   in Loop: Header=BB4_83 Depth=1
	s_or_b64 exec, exec, s[66:67]
	s_and_saveexec_b64 vcc, s[68:69]
	s_xor_b64 vcc, exec, vcc
	s_cbranch_execz .LBB4_538
; %bb.537:                              ;   in Loop: Header=BB4_83 Depth=1
	ds_write_b32 v0, v56
	s_trap 2
.LBB4_538:                              ;   in Loop: Header=BB4_83 Depth=1
	s_or_b64 exec, exec, s[64:65]
	;;#ASMSTART
	s_wakeup
	;;#ASMEND
.LBB4_539:                              ;   in Loop: Header=BB4_83 Depth=1
	s_or_b64 exec, exec, s[42:43]
.LBB4_540:                              ;   in Loop: Header=BB4_83 Depth=1
	s_andn2_saveexec_b64 vcc, s[40:41]
	s_cbranch_execz .LBB4_542
; %bb.541:                              ;   in Loop: Header=BB4_83 Depth=1
	s_waitcnt vmcnt(0) lgkmcnt(0)
	buffer_wbinvl1_vol
	s_barrier
.LBB4_542:                              ;   in Loop: Header=BB4_83 Depth=1
	s_or_b64 exec, exec, vcc
	s_or_b64 exec, exec, s[36:37]
                                        ; implicit-def: $vgpr1
	s_and_saveexec_b64 vcc, s[28:29]
	s_xor_b64 s[36:37], exec, vcc
	s_cbranch_execnz .LBB4_502
.LBB4_543:                              ;   in Loop: Header=BB4_83 Depth=1
	s_andn2_saveexec_b64 s[36:37], s[36:37]
	s_cbranch_execz .LBB4_611
.LBB4_544:                              ;   in Loop: Header=BB4_83 Depth=1
	s_and_saveexec_b64 vcc, s[52:53]
	s_xor_b64 s[40:41], exec, vcc
	s_cbranch_execz .LBB4_608
; %bb.545:                              ;   in Loop: Header=BB4_83 Depth=1
	s_and_saveexec_b64 s[42:43], s[20:21]
	s_cbranch_execz .LBB4_607
; %bb.546:                              ;   in Loop: Header=BB4_83 Depth=1
	s_mov_b64 s[66:67], exec
	v_mbcnt_lo_u32_b32 v1, s66, 0
	v_mbcnt_hi_u32_b32 v1, s67, v1
	v_cmp_eq_u32_e32 vcc, 0, v1
	;;#ASMSTART
	s_waitcnt lgkmcnt(0) vmcnt(0)
	;;#ASMEND
	s_and_saveexec_b64 s[64:65], vcc
	s_cbranch_execz .LBB4_548
; %bb.547:                              ;   in Loop: Header=BB4_83 Depth=1
	s_bcnt1_i32_b64 vcc_lo, s[66:67]
	v_mov_b32_e32 v2, vcc_lo
	v_mov_b32_e32 v3, v36
	ds_add_u64 v0, v[2:3]
	s_trap 2
.LBB4_548:                              ;   in Loop: Header=BB4_83 Depth=1
	s_or_b64 exec, exec, s[64:65]
	s_trap 2
	ds_read_b64 v[2:3], v0
	v_add_co_u32_e32 v28, vcc, v28, v30
	v_addc_co_u32_e32 v29, vcc, 0, v29, vcc
	s_waitcnt lgkmcnt(0)
	v_cmp_lt_u64_e32 vcc, v[2:3], v[28:29]
	s_and_saveexec_b64 s[64:65], vcc
	s_cbranch_execz .LBB4_606
; %bb.549:                              ;   in Loop: Header=BB4_83 Depth=1
	s_mov_b32 s76, 0
	s_mov_b64 s[66:67], 0
                                        ; implicit-def: $sgpr68_sgpr69
                                        ; implicit-def: $sgpr70_sgpr71
	s_branch .LBB4_551
.LBB4_550:                              ;   in Loop: Header=BB4_551 Depth=2
	s_or_b64 exec, exec, s[74:75]
	s_and_b64 vcc, exec, vcc
	s_or_b64 s[66:67], vcc, s[66:67]
	s_andn2_b64 vcc, s[68:69], exec
	s_and_b64 s[68:69], s[70:71], exec
	s_or_b64 s[68:69], vcc, s[68:69]
	s_andn2_b64 exec, exec, s[66:67]
	s_cbranch_execz .LBB4_604
.LBB4_551:                              ;   Parent Loop BB4_83 Depth=1
                                        ; =>  This Inner Loop Header: Depth=2
	s_add_i32 s76, s76, 1
	s_cmpk_lg_i32 s76, 0x2710
	s_cselect_b64 s[72:73], -1, 0
	s_and_b64 vcc, exec, s[72:73]
                                        ; implicit-def: $sgpr74_sgpr75
	s_cbranch_vccnz .LBB4_553
; %bb.552:                              ;   in Loop: Header=BB4_551 Depth=2
	s_trap 2
	ds_read_b64 v[2:3], v0
	s_andn2_b64 s[72:73], s[72:73], exec
	s_mov_b32 s76, 0
	s_mov_b64 s[74:75], -1
	s_waitcnt vmcnt(0) lgkmcnt(0)
	flat_load_dword v1, v[2:3] glc
	s_waitcnt vmcnt(0) lgkmcnt(0)
	buffer_invl2
	buffer_wbinvl1_vol
	v_cmp_eq_u32_e32 vcc, 0, v1
	s_and_b64 vcc, vcc, exec
	s_or_b64 s[72:73], s[72:73], vcc
.LBB4_553:                              ;   in Loop: Header=BB4_551 Depth=2
	s_andn2_b64 s[70:71], s[70:71], exec
	s_and_b64 s[74:75], s[74:75], exec
	s_mov_b64 vcc, -1
	s_or_b64 s[70:71], s[70:71], s[74:75]
	s_and_saveexec_b64 s[74:75], s[72:73]
	s_cbranch_execz .LBB4_550
; %bb.554:                              ;   in Loop: Header=BB4_551 Depth=2
	s_sleep 1
	s_trap 2
	ds_read_b64 v[2:3], v0
	s_andn2_b64 s[70:71], s[70:71], exec
	s_waitcnt lgkmcnt(0)
	v_cmp_ge_u64_e32 vcc, v[2:3], v[28:29]
	s_orn2_b64 vcc, vcc, exec
	s_branch .LBB4_550
.LBB4_555:                              ;   in Loop: Header=BB4_83 Depth=1
	s_or_b64 exec, exec, s[64:65]
	s_and_saveexec_b64 vcc, s[66:67]
	s_xor_b64 vcc, exec, vcc
	s_cbranch_execz .LBB4_557
; %bb.556:                              ;   in Loop: Header=BB4_83 Depth=1
	ds_write_b32 v0, v56
	s_trap 2
.LBB4_557:                              ;   in Loop: Header=BB4_83 Depth=1
	s_or_b64 exec, exec, s[62:63]
	;;#ASMSTART
	s_wakeup
	;;#ASMEND
.LBB4_558:                              ;   in Loop: Header=BB4_83 Depth=1
	s_or_b64 exec, exec, s[42:43]
.LBB4_559:                              ;   in Loop: Header=BB4_83 Depth=1
	s_andn2_saveexec_b64 vcc, s[40:41]
	s_cbranch_execz .LBB4_561
; %bb.560:                              ;   in Loop: Header=BB4_83 Depth=1
	;;#ASMSTART
	s_waitcnt lgkmcnt(0) vmcnt(0)
	;;#ASMEND
	s_barrier
.LBB4_561:                              ;   in Loop: Header=BB4_83 Depth=1
	s_or_b64 exec, exec, vcc
	v_and_b32_e32 v1, 16, v46
.LBB4_562:                              ;   in Loop: Header=BB4_83 Depth=1
	s_or_b64 exec, exec, s[36:37]
	v_cmp_ne_u32_e32 vcc, 0, v1
	s_xor_b64 s[36:37], s[16:17], -1
	s_and_b64 s[36:37], vcc, s[36:37]
	s_and_saveexec_b64 vcc, s[36:37]
	s_cbranch_execz .LBB4_564
; %bb.563:                              ;   in Loop: Header=BB4_83 Depth=1
	flat_store_dword v[52:53], v56
.LBB4_564:                              ;   in Loop: Header=BB4_83 Depth=1
	s_or_b64 exec, exec, vcc
	v_and_b32_e32 v1, 48, v46
	v_cmp_ne_u32_e32 vcc, 0, v1
	s_and_b64 vcc, vcc, exec
.LBB4_565:                              ;   in Loop: Header=BB4_83 Depth=1
	s_or_b64 exec, exec, s[38:39]
	s_and_b64 s[38:39], vcc, exec
                                        ; implicit-def: $vgpr42
                                        ; implicit-def: $vgpr19
                                        ; implicit-def: $vgpr2
                                        ; implicit-def: $vgpr3
.LBB4_566:                              ;   in Loop: Header=BB4_83 Depth=1
	s_andn2_saveexec_b64 s[40:41], s[58:59]
	s_cbranch_execz .LBB4_990
; %bb.567:                              ;   in Loop: Header=BB4_83 Depth=1
	v_mov_b32_e32 v1, 0
	s_and_saveexec_b64 s[42:43], s[34:35]
	s_cbranch_execz .LBB4_840
; %bb.568:                              ;   in Loop: Header=BB4_83 Depth=1
	s_and_saveexec_b64 s[36:37], s[4:5]
	s_cbranch_execz .LBB4_570
; %bb.569:                              ;   in Loop: Header=BB4_83 Depth=1
	s_trap 2
	ds_read_b128 v[12:15], v0
	s_waitcnt lgkmcnt(0)
	v_add_co_u32_e32 v12, vcc, v12, v2
	v_addc_co_u32_e32 v13, vcc, v13, v3, vcc
	v_add_co_u32_e32 v1, vcc, v14, v2
	v_addc_co_u32_e32 v2, vcc, v15, v3, vcc
	v_cmp_ne_u64_e32 vcc, 0, v[14:15]
	v_cndmask_b32_e32 v3, 0, v2, vcc
	v_cndmask_b32_e32 v2, 0, v1, vcc
	ds_write_b64 v0, v[12:13]
	ds_write_b64 v0, v[2:3]
.LBB4_570:                              ;   in Loop: Header=BB4_83 Depth=1
	s_or_b64 exec, exec, s[36:37]
	v_and_b32_e32 v1, 4, v46
	v_cmp_ne_u32_e32 vcc, 0, v1
	s_mov_b64 s[58:59], -1
	s_and_saveexec_b64 s[36:37], vcc
	s_cbranch_execz .LBB4_580
; %bb.571:                              ;   in Loop: Header=BB4_83 Depth=1
	v_add_co_u32_e32 v2, vcc, 1, v8
	v_addc_co_u32_e32 v3, vcc, 0, v9, vcc
	v_cmp_lt_u64_e32 vcc, v[34:35], v[2:3]
	v_mov_b32_e32 v1, 1
	s_and_saveexec_b64 s[58:59], vcc
	s_cbranch_execz .LBB4_591
; %bb.572:                              ;   in Loop: Header=BB4_83 Depth=1
	s_mov_b64 s[62:63], 0
	v_mov_b32_e32 v1, 0
                                        ; implicit-def: $sgpr64_sgpr65
	s_branch .LBB4_576
.LBB4_573:                              ;   in Loop: Header=BB4_576 Depth=2
	s_or_b64 exec, exec, s[72:73]
	v_mov_b32_e32 v10, 0
	s_orn2_b64 s[70:71], s[70:71], exec
.LBB4_574:                              ;   in Loop: Header=BB4_576 Depth=2
	s_or_b64 exec, exec, s[68:69]
	s_andn2_b64 vcc, s[64:65], exec
	s_and_b64 s[64:65], s[70:71], exec
	s_or_b64 s[64:65], vcc, s[64:65]
	v_mov_b32_e32 v1, v10
.LBB4_575:                              ;   in Loop: Header=BB4_576 Depth=2
	s_or_b64 exec, exec, s[66:67]
	s_waitcnt vmcnt(0) lgkmcnt(0)
	v_cmp_ge_u64_e32 vcc, v[34:35], v[2:3]
	s_xor_b64 s[66:67], s[64:65], -1
	s_or_b64 vcc, s[66:67], vcc
	s_and_b64 vcc, exec, vcc
	s_or_b64 s[62:63], vcc, s[62:63]
	s_andn2_b64 exec, exec, s[62:63]
	s_cbranch_execz .LBB4_590
.LBB4_576:                              ;   Parent Loop BB4_83 Depth=1
                                        ; =>  This Inner Loop Header: Depth=2
	s_sleep 1
	flat_load_dwordx2 v[34:35], v[22:23] glc
	v_and_b32_e32 v10, 64, v46
	v_cmp_eq_u32_e32 vcc, 0, v10
	s_andn2_b64 s[64:65], s[64:65], exec
	s_and_saveexec_b64 s[66:67], vcc
	s_cbranch_execz .LBB4_575
; %bb.577:                              ;   in Loop: Header=BB4_576 Depth=2
	v_add_u32_e32 v10, 1, v1
	v_cmp_lt_i32_e32 vcc, s81, v1
	s_mov_b64 s[70:71], -1
	s_and_saveexec_b64 s[68:69], vcc
	s_cbranch_execz .LBB4_574
; %bb.578:                              ;   in Loop: Header=BB4_576 Depth=2
	s_trap 2
	ds_read_b64 v[12:13], v0
	s_waitcnt vmcnt(0) lgkmcnt(0)
	flat_load_dword v1, v[12:13] glc
	s_waitcnt vmcnt(0) lgkmcnt(0)
	buffer_invl2
	buffer_wbinvl1_vol
	v_cmp_ne_u32_e32 vcc, 0, v1
	s_and_saveexec_b64 s[72:73], vcc
	s_cbranch_execz .LBB4_573
; %bb.579:                              ;   in Loop: Header=BB4_576 Depth=2
	v_or_b32_e32 v46, 64, v46
	s_xor_b64 s[70:71], exec, -1
	ds_write_b32 v0, v1
	s_trap 2
	s_branch .LBB4_573
.LBB4_580:                              ;   in Loop: Header=BB4_83 Depth=1
	s_or_b64 exec, exec, s[36:37]
	s_xor_b64 vcc, s[58:59], -1
	s_and_saveexec_b64 s[58:59], vcc
	s_cbranch_execz .LBB4_592
.LBB4_581:                              ;   in Loop: Header=BB4_83 Depth=1
	v_and_b32_e32 v1, 0x100, v46
	v_cmp_ne_u32_e32 vcc, 0, v1
	v_and_b32_e32 v1, 7, v8
	s_mov_b64 s[36:37], -1
                                        ; implicit-def: $vgpr2_vgpr3
	s_and_saveexec_b64 s[62:63], vcc
	s_cbranch_execz .LBB4_585
; %bb.582:                              ;   in Loop: Header=BB4_83 Depth=1
	v_mad_u64_u32 v[12:13], vcc, v1, 24, v[6:7]
	flat_load_dword v2, v[12:13]
	s_waitcnt vmcnt(0) lgkmcnt(0)
	v_cmp_ne_u32_e32 vcc, 1, v2
	v_cmp_eq_u32_e64 s[36:37], 1, v2
                                        ; implicit-def: $vgpr2_vgpr3
	s_and_saveexec_b64 s[64:65], s[36:37]
	s_cbranch_execz .LBB4_584
; %bb.583:                              ;   in Loop: Header=BB4_83 Depth=1
	flat_load_dword v2, v[12:13] offset:4 glc
	s_waitcnt vmcnt(0) lgkmcnt(0)
	v_ashrrev_i32_e32 v3, 31, v2
.LBB4_584:                              ;   in Loop: Header=BB4_83 Depth=1
	s_or_b64 exec, exec, s[64:65]
	s_orn2_b64 s[36:37], vcc, exec
.LBB4_585:                              ;   in Loop: Header=BB4_83 Depth=1
	s_or_b64 exec, exec, s[62:63]
	s_and_saveexec_b64 vcc, s[36:37]
; %bb.586:                              ;   in Loop: Header=BB4_83 Depth=1
	v_mad_i64_i32 v[2:3], s[36:37], v1, v24, 0
; %bb.587:                              ;   in Loop: Header=BB4_83 Depth=1
	s_or_b64 exec, exec, vcc
	v_add_co_u32_e32 v2, vcc, v26, v2
	v_addc_co_u32_e32 v3, vcc, v27, v3, vcc
	v_and_b32_e32 v1, 0x2000, v46
	v_cmp_ne_u32_e32 vcc, 0, v1
	ds_write_b64 v0, v[2:3] offset:720
	s_and_saveexec_b64 s[36:37], vcc
	s_cbranch_execz .LBB4_589
; %bb.588:                              ;   in Loop: Header=BB4_83 Depth=1
	ds_read_b64 v[2:3], v0 offset:584
	s_waitcnt lgkmcnt(0)
	v_add_co_u32_e32 v2, vcc, 1, v2
	v_addc_co_u32_e32 v3, vcc, 0, v3, vcc
	ds_write_b64 v0, v[2:3] offset:584
.LBB4_589:                              ;   in Loop: Header=BB4_83 Depth=1
	s_or_b64 exec, exec, s[36:37]
	v_add_co_u32_e32 v8, vcc, 1, v8
	v_addc_co_u32_e32 v9, vcc, 0, v9, vcc
	s_or_b64 exec, exec, s[58:59]
	s_and_saveexec_b64 s[36:37], s[14:15]
	s_cbranch_execz .LBB4_660
	s_branch .LBB4_593
.LBB4_590:                              ;   in Loop: Header=BB4_83 Depth=1
	s_or_b64 exec, exec, s[62:63]
	v_and_b32_e32 v1, 4, v46
.LBB4_591:                              ;   in Loop: Header=BB4_83 Depth=1
	s_or_b64 exec, exec, s[58:59]
	v_cmp_eq_u32_e32 vcc, 0, v1
	s_orn2_b64 s[58:59], vcc, exec
	;;#ASMSTART
	s_wakeup
	;;#ASMEND
	s_or_b64 exec, exec, s[36:37]
	s_xor_b64 vcc, s[58:59], -1
	s_and_saveexec_b64 s[58:59], vcc
	s_cbranch_execnz .LBB4_581
.LBB4_592:                              ;   in Loop: Header=BB4_83 Depth=1
	s_or_b64 exec, exec, s[58:59]
	s_and_saveexec_b64 s[36:37], s[14:15]
	s_cbranch_execz .LBB4_660
.LBB4_593:                              ;   in Loop: Header=BB4_83 Depth=1
	s_and_saveexec_b64 vcc, s[52:53]
	s_xor_b64 s[58:59], exec, vcc
	s_cbranch_execz .LBB4_657
; %bb.594:                              ;   in Loop: Header=BB4_83 Depth=1
	s_and_saveexec_b64 s[62:63], s[20:21]
	s_cbranch_execz .LBB4_656
; %bb.595:                              ;   in Loop: Header=BB4_83 Depth=1
	s_mov_b64 s[66:67], exec
	v_mbcnt_lo_u32_b32 v1, s66, 0
	v_mbcnt_hi_u32_b32 v1, s67, v1
	v_cmp_eq_u32_e32 vcc, 0, v1
	s_waitcnt vmcnt(0) lgkmcnt(0)
	buffer_wbinvl1_vol
	s_and_saveexec_b64 s[64:65], vcc
	s_cbranch_execz .LBB4_597
; %bb.596:                              ;   in Loop: Header=BB4_83 Depth=1
	s_bcnt1_i32_b64 vcc_lo, s[66:67]
	v_mov_b32_e32 v2, vcc_lo
	v_mov_b32_e32 v3, v36
	ds_add_u64 v0, v[2:3]
	s_trap 2
.LBB4_597:                              ;   in Loop: Header=BB4_83 Depth=1
	s_or_b64 exec, exec, s[64:65]
	s_trap 2
	ds_read_b64 v[2:3], v0
	v_add_co_u32_e32 v28, vcc, v28, v30
	v_addc_co_u32_e32 v29, vcc, 0, v29, vcc
	s_waitcnt lgkmcnt(0)
	v_cmp_lt_u64_e32 vcc, v[2:3], v[28:29]
	s_and_saveexec_b64 s[64:65], vcc
	s_cbranch_execz .LBB4_655
; %bb.598:                              ;   in Loop: Header=BB4_83 Depth=1
	s_mov_b32 s76, 0
	s_mov_b64 s[66:67], 0
                                        ; implicit-def: $sgpr68_sgpr69
                                        ; implicit-def: $sgpr70_sgpr71
	s_branch .LBB4_600
.LBB4_599:                              ;   in Loop: Header=BB4_600 Depth=2
	s_or_b64 exec, exec, s[74:75]
	s_and_b64 vcc, exec, vcc
	s_or_b64 s[66:67], vcc, s[66:67]
	s_andn2_b64 vcc, s[68:69], exec
	s_and_b64 s[68:69], s[70:71], exec
	s_or_b64 s[68:69], vcc, s[68:69]
	s_andn2_b64 exec, exec, s[66:67]
	s_cbranch_execz .LBB4_653
.LBB4_600:                              ;   Parent Loop BB4_83 Depth=1
                                        ; =>  This Inner Loop Header: Depth=2
	s_add_i32 s76, s76, 1
	s_cmpk_lg_i32 s76, 0x2710
	s_cselect_b64 s[72:73], -1, 0
	s_and_b64 vcc, exec, s[72:73]
                                        ; implicit-def: $sgpr74_sgpr75
	s_cbranch_vccnz .LBB4_602
; %bb.601:                              ;   in Loop: Header=BB4_600 Depth=2
	s_trap 2
	ds_read_b64 v[2:3], v0
	s_andn2_b64 s[72:73], s[72:73], exec
	s_mov_b32 s76, 0
	s_mov_b64 s[74:75], -1
	s_waitcnt lgkmcnt(0)
	flat_load_dword v1, v[2:3] glc
	s_waitcnt vmcnt(0) lgkmcnt(0)
	buffer_invl2
	buffer_wbinvl1_vol
	v_cmp_eq_u32_e32 vcc, 0, v1
	s_and_b64 vcc, vcc, exec
	s_or_b64 s[72:73], s[72:73], vcc
.LBB4_602:                              ;   in Loop: Header=BB4_600 Depth=2
	s_andn2_b64 s[70:71], s[70:71], exec
	s_and_b64 s[74:75], s[74:75], exec
	s_mov_b64 vcc, -1
	s_or_b64 s[70:71], s[70:71], s[74:75]
	s_and_saveexec_b64 s[74:75], s[72:73]
	s_cbranch_execz .LBB4_599
; %bb.603:                              ;   in Loop: Header=BB4_600 Depth=2
	s_sleep 1
	s_trap 2
	ds_read_b64 v[2:3], v0
	s_andn2_b64 s[70:71], s[70:71], exec
	s_waitcnt lgkmcnt(0)
	v_cmp_ge_u64_e32 vcc, v[2:3], v[28:29]
	s_orn2_b64 vcc, vcc, exec
	s_branch .LBB4_599
.LBB4_604:                              ;   in Loop: Header=BB4_83 Depth=1
	s_or_b64 exec, exec, s[66:67]
	s_and_saveexec_b64 vcc, s[68:69]
	s_xor_b64 vcc, exec, vcc
	s_cbranch_execz .LBB4_606
; %bb.605:                              ;   in Loop: Header=BB4_83 Depth=1
	ds_write_b32 v0, v56
	s_trap 2
.LBB4_606:                              ;   in Loop: Header=BB4_83 Depth=1
	s_or_b64 exec, exec, s[64:65]
	;;#ASMSTART
	s_wakeup
	;;#ASMEND
.LBB4_607:                              ;   in Loop: Header=BB4_83 Depth=1
	s_or_b64 exec, exec, s[42:43]
.LBB4_608:                              ;   in Loop: Header=BB4_83 Depth=1
	s_andn2_saveexec_b64 vcc, s[40:41]
	s_cbranch_execz .LBB4_610
; %bb.609:                              ;   in Loop: Header=BB4_83 Depth=1
	;;#ASMSTART
	s_waitcnt lgkmcnt(0) vmcnt(0)
	;;#ASMEND
	s_barrier
.LBB4_610:                              ;   in Loop: Header=BB4_83 Depth=1
	s_or_b64 exec, exec, vcc
	v_and_b32_e32 v1, 16, v46
.LBB4_611:                              ;   in Loop: Header=BB4_83 Depth=1
	s_or_b64 exec, exec, s[36:37]
	v_cmp_ne_u32_e32 vcc, 0, v1
	s_mov_b64 s[36:37], 0
	s_mov_b64 s[40:41], s[58:59]
	s_and_saveexec_b64 s[42:43], vcc
	s_xor_b64 vcc, exec, s[42:43]
; %bb.612:                              ;   in Loop: Header=BB4_83 Depth=1
	s_andn2_b64 s[36:37], s[58:59], exec
	s_and_b64 s[40:41], s[16:17], exec
	s_or_b64 s[40:41], s[36:37], s[40:41]
	s_and_b64 s[36:37], s[18:19], exec
; %bb.613:                              ;   in Loop: Header=BB4_83 Depth=1
	s_or_b64 exec, exec, vcc
	s_andn2_b64 vcc, s[58:59], exec
	s_and_b64 s[40:41], s[40:41], exec
	s_or_b64 s[40:41], vcc, s[40:41]
	s_and_b64 vcc, s[36:37], exec
.LBB4_614:                              ;   in Loop: Header=BB4_83 Depth=1
	s_or_b64 exec, exec, s[38:39]
	s_andn2_b64 s[36:37], s[58:59], exec
	s_and_b64 s[38:39], s[40:41], exec
	s_or_b64 s[36:37], s[36:37], s[38:39]
	s_and_b64 s[38:39], vcc, exec
                                        ; implicit-def: $vgpr42
                                        ; implicit-def: $vgpr19
                                        ; implicit-def: $vgpr2
                                        ; implicit-def: $vgpr3
.LBB4_615:                              ;   in Loop: Header=BB4_83 Depth=1
	s_andn2_saveexec_b64 s[40:41], s[62:63]
	s_cbranch_execz .LBB4_978
; %bb.616:                              ;   in Loop: Header=BB4_83 Depth=1
	v_mov_b32_e32 v1, 0
	s_and_saveexec_b64 s[42:43], s[34:35]
	s_cbranch_execz .LBB4_890
; %bb.617:                              ;   in Loop: Header=BB4_83 Depth=1
	s_and_saveexec_b64 s[34:35], s[4:5]
	s_cbranch_execz .LBB4_619
; %bb.618:                              ;   in Loop: Header=BB4_83 Depth=1
	s_trap 2
	ds_read_b64 v[12:13], v0
	v_mov_b32_e32 v37, v36
	ds_write_b64 v0, v[36:37]
	s_waitcnt lgkmcnt(0)
	v_add_co_u32_e32 v2, vcc, v12, v2
	v_addc_co_u32_e32 v3, vcc, v13, v3, vcc
	ds_write_b64 v0, v[2:3]
.LBB4_619:                              ;   in Loop: Header=BB4_83 Depth=1
	s_or_b64 exec, exec, s[34:35]
	v_and_b32_e32 v1, 8, v46
	v_cmp_ne_u32_e32 vcc, 0, v1
	s_mov_b64 s[62:63], -1
	s_and_saveexec_b64 s[34:35], vcc
	s_cbranch_execz .LBB4_631
; %bb.620:                              ;   in Loop: Header=BB4_83 Depth=1
	v_add_co_u32_e32 v12, vcc, 8, v34
	v_addc_co_u32_e32 v13, vcc, 0, v35, vcc
	v_add_co_u32_e32 v2, vcc, 1, v8
	v_addc_co_u32_e32 v3, vcc, 0, v9, vcc
	v_cmp_lt_u64_e32 vcc, v[12:13], v[2:3]
	v_mov_b32_e32 v1, 1
	s_and_saveexec_b64 s[62:63], vcc
	s_cbranch_execz .LBB4_630
; %bb.621:                              ;   in Loop: Header=BB4_83 Depth=1
	s_mov_b64 s[64:65], 0
	v_mov_b32_e32 v1, 0
                                        ; implicit-def: $sgpr66_sgpr67
	s_branch .LBB4_625
.LBB4_622:                              ;   in Loop: Header=BB4_625 Depth=2
	s_or_b64 exec, exec, s[74:75]
	v_mov_b32_e32 v10, 0
	s_orn2_b64 s[72:73], s[72:73], exec
.LBB4_623:                              ;   in Loop: Header=BB4_625 Depth=2
	s_or_b64 exec, exec, s[70:71]
	s_andn2_b64 vcc, s[66:67], exec
	s_and_b64 s[66:67], s[72:73], exec
	s_or_b64 s[66:67], vcc, s[66:67]
	v_mov_b32_e32 v1, v10
.LBB4_624:                              ;   in Loop: Header=BB4_625 Depth=2
	s_or_b64 exec, exec, s[68:69]
	s_waitcnt vmcnt(0) lgkmcnt(0)
	v_add_co_u32_e32 v12, vcc, 8, v34
	v_addc_co_u32_e32 v13, vcc, 0, v35, vcc
	v_cmp_ge_u64_e32 vcc, v[12:13], v[2:3]
	s_xor_b64 s[68:69], s[66:67], -1
	s_or_b64 vcc, s[68:69], vcc
	s_and_b64 vcc, exec, vcc
	s_or_b64 s[64:65], vcc, s[64:65]
	s_andn2_b64 exec, exec, s[64:65]
	s_cbranch_execz .LBB4_629
.LBB4_625:                              ;   Parent Loop BB4_83 Depth=1
                                        ; =>  This Inner Loop Header: Depth=2
	s_sleep 1
	flat_load_dwordx2 v[34:35], v[22:23] glc
	v_and_b32_e32 v10, 64, v46
	v_cmp_eq_u32_e32 vcc, 0, v10
	s_andn2_b64 s[66:67], s[66:67], exec
	s_and_saveexec_b64 s[68:69], vcc
	s_cbranch_execz .LBB4_624
; %bb.626:                              ;   in Loop: Header=BB4_625 Depth=2
	v_add_u32_e32 v10, 1, v1
	v_cmp_lt_i32_e32 vcc, s81, v1
	s_mov_b64 s[72:73], -1
	s_and_saveexec_b64 s[70:71], vcc
	s_cbranch_execz .LBB4_623
; %bb.627:                              ;   in Loop: Header=BB4_625 Depth=2
	s_trap 2
	ds_read_b64 v[12:13], v0
	s_waitcnt vmcnt(0) lgkmcnt(0)
	flat_load_dword v1, v[12:13] glc
	s_waitcnt vmcnt(0) lgkmcnt(0)
	buffer_invl2
	buffer_wbinvl1_vol
	v_cmp_ne_u32_e32 vcc, 0, v1
	s_and_saveexec_b64 s[74:75], vcc
	s_cbranch_execz .LBB4_622
; %bb.628:                              ;   in Loop: Header=BB4_625 Depth=2
	v_or_b32_e32 v46, 64, v46
	s_xor_b64 s[72:73], exec, -1
	ds_write_b32 v0, v1
	s_trap 2
	s_branch .LBB4_622
.LBB4_629:                              ;   in Loop: Header=BB4_83 Depth=1
	s_or_b64 exec, exec, s[64:65]
	v_and_b32_e32 v1, 8, v46
.LBB4_630:                              ;   in Loop: Header=BB4_83 Depth=1
	s_or_b64 exec, exec, s[62:63]
	v_cmp_eq_u32_e32 vcc, 0, v1
	s_orn2_b64 s[62:63], vcc, exec
	;;#ASMSTART
	s_wakeup
	;;#ASMEND
.LBB4_631:                              ;   in Loop: Header=BB4_83 Depth=1
	s_or_b64 exec, exec, s[34:35]
	s_xor_b64 vcc, s[62:63], -1
	v_min_i32_e32 v42, v42, v19
	s_and_saveexec_b64 s[62:63], vcc
	s_cbranch_execz .LBB4_641
; %bb.632:                              ;   in Loop: Header=BB4_83 Depth=1
	v_and_b32_e32 v1, 0x100, v46
	v_cmp_ne_u32_e32 vcc, 0, v1
	v_and_b32_e32 v1, 7, v8
	s_mov_b64 s[34:35], -1
                                        ; implicit-def: $vgpr2_vgpr3
	s_and_saveexec_b64 s[64:65], vcc
	s_cbranch_execz .LBB4_636
; %bb.633:                              ;   in Loop: Header=BB4_83 Depth=1
	v_mad_u64_u32 v[12:13], vcc, v1, 24, v[6:7]
	flat_load_dword v2, v[12:13]
	v_ashrrev_i32_e32 v43, 31, v42
	flat_store_dwordx2 v[12:13], v[42:43] offset:8
	s_waitcnt vmcnt(0) lgkmcnt(0)
	v_cmp_ne_u32_e32 vcc, 1, v2
	v_cmp_eq_u32_e64 s[34:35], 1, v2
                                        ; implicit-def: $vgpr2_vgpr3
	s_and_saveexec_b64 s[66:67], s[34:35]
	s_cbranch_execz .LBB4_635
; %bb.634:                              ;   in Loop: Header=BB4_83 Depth=1
	flat_load_dword v2, v[12:13] offset:4 glc
	s_waitcnt vmcnt(0) lgkmcnt(0)
	v_ashrrev_i32_e32 v3, 31, v2
.LBB4_635:                              ;   in Loop: Header=BB4_83 Depth=1
	s_or_b64 exec, exec, s[66:67]
	s_orn2_b64 s[34:35], vcc, exec
.LBB4_636:                              ;   in Loop: Header=BB4_83 Depth=1
	s_or_b64 exec, exec, s[64:65]
	s_and_saveexec_b64 vcc, s[34:35]
; %bb.637:                              ;   in Loop: Header=BB4_83 Depth=1
	v_mad_i64_i32 v[2:3], s[34:35], v1, v24, 0
; %bb.638:                              ;   in Loop: Header=BB4_83 Depth=1
	s_or_b64 exec, exec, vcc
	v_add_co_u32_e32 v2, vcc, v26, v2
	v_addc_co_u32_e32 v3, vcc, v27, v3, vcc
	v_and_b32_e32 v1, 0x2000, v46
	v_cmp_ne_u32_e32 vcc, 0, v1
	ds_write_b64 v0, v[2:3] offset:784
	s_and_saveexec_b64 s[34:35], vcc
	s_cbranch_execz .LBB4_640
; %bb.639:                              ;   in Loop: Header=BB4_83 Depth=1
	ds_read_b64 v[2:3], v0 offset:584
	s_waitcnt lgkmcnt(0)
	v_add_co_u32_e32 v2, vcc, 1, v2
	v_addc_co_u32_e32 v3, vcc, 0, v3, vcc
	ds_write_b64 v0, v[2:3] offset:584
.LBB4_640:                              ;   in Loop: Header=BB4_83 Depth=1
	s_or_b64 exec, exec, s[34:35]
	v_add_co_u32_e32 v8, vcc, 1, v8
	v_addc_co_u32_e32 v9, vcc, 0, v9, vcc
.LBB4_641:                              ;   in Loop: Header=BB4_83 Depth=1
	s_or_b64 exec, exec, s[62:63]
	s_and_saveexec_b64 s[34:35], s[14:15]
	s_cbranch_execz .LBB4_679
; %bb.642:                              ;   in Loop: Header=BB4_83 Depth=1
	s_and_saveexec_b64 vcc, s[52:53]
	s_xor_b64 s[62:63], exec, vcc
	s_cbranch_execz .LBB4_676
; %bb.643:                              ;   in Loop: Header=BB4_83 Depth=1
	s_and_saveexec_b64 s[64:65], s[20:21]
	s_cbranch_execz .LBB4_675
; %bb.644:                              ;   in Loop: Header=BB4_83 Depth=1
	s_mov_b64 s[68:69], exec
	v_mbcnt_lo_u32_b32 v1, s68, 0
	v_mbcnt_hi_u32_b32 v1, s69, v1
	v_cmp_eq_u32_e32 vcc, 0, v1
	s_waitcnt vmcnt(0) lgkmcnt(0)
	buffer_wbinvl1_vol
	s_and_saveexec_b64 s[66:67], vcc
	s_cbranch_execz .LBB4_646
; %bb.645:                              ;   in Loop: Header=BB4_83 Depth=1
	s_bcnt1_i32_b64 vcc_lo, s[68:69]
	v_mov_b32_e32 v2, vcc_lo
	v_mov_b32_e32 v3, v36
	ds_add_u64 v0, v[2:3]
	s_trap 2
.LBB4_646:                              ;   in Loop: Header=BB4_83 Depth=1
	s_or_b64 exec, exec, s[66:67]
	s_trap 2
	ds_read_b64 v[2:3], v0
	v_add_co_u32_e32 v28, vcc, v28, v30
	v_addc_co_u32_e32 v29, vcc, 0, v29, vcc
	s_waitcnt lgkmcnt(0)
	v_cmp_lt_u64_e32 vcc, v[2:3], v[28:29]
	s_and_saveexec_b64 s[66:67], vcc
	s_cbranch_execz .LBB4_674
; %bb.647:                              ;   in Loop: Header=BB4_83 Depth=1
	s_mov_b32 s78, 0
	s_mov_b64 s[68:69], 0
                                        ; implicit-def: $sgpr70_sgpr71
                                        ; implicit-def: $sgpr72_sgpr73
	s_branch .LBB4_649
.LBB4_648:                              ;   in Loop: Header=BB4_649 Depth=2
	s_or_b64 exec, exec, s[76:77]
	s_and_b64 vcc, exec, vcc
	s_or_b64 s[68:69], vcc, s[68:69]
	s_andn2_b64 vcc, s[70:71], exec
	s_and_b64 s[70:71], s[72:73], exec
	s_or_b64 s[70:71], vcc, s[70:71]
	s_andn2_b64 exec, exec, s[68:69]
	s_cbranch_execz .LBB4_672
.LBB4_649:                              ;   Parent Loop BB4_83 Depth=1
                                        ; =>  This Inner Loop Header: Depth=2
	s_add_i32 s78, s78, 1
	s_cmpk_lg_i32 s78, 0x2710
	s_cselect_b64 s[74:75], -1, 0
	s_and_b64 vcc, exec, s[74:75]
                                        ; implicit-def: $sgpr76_sgpr77
	s_cbranch_vccnz .LBB4_651
; %bb.650:                              ;   in Loop: Header=BB4_649 Depth=2
	s_trap 2
	ds_read_b64 v[2:3], v0
	s_andn2_b64 s[74:75], s[74:75], exec
	s_mov_b32 s78, 0
	s_mov_b64 s[76:77], -1
	s_waitcnt lgkmcnt(0)
	flat_load_dword v1, v[2:3] glc
	s_waitcnt vmcnt(0) lgkmcnt(0)
	buffer_invl2
	buffer_wbinvl1_vol
	v_cmp_eq_u32_e32 vcc, 0, v1
	s_and_b64 vcc, vcc, exec
	s_or_b64 s[74:75], s[74:75], vcc
.LBB4_651:                              ;   in Loop: Header=BB4_649 Depth=2
	s_andn2_b64 s[72:73], s[72:73], exec
	s_and_b64 s[76:77], s[76:77], exec
	s_mov_b64 vcc, -1
	s_or_b64 s[72:73], s[72:73], s[76:77]
	s_and_saveexec_b64 s[76:77], s[74:75]
	s_cbranch_execz .LBB4_648
; %bb.652:                              ;   in Loop: Header=BB4_649 Depth=2
	s_sleep 1
	s_trap 2
	ds_read_b64 v[2:3], v0
	s_andn2_b64 s[72:73], s[72:73], exec
	s_waitcnt lgkmcnt(0)
	v_cmp_ge_u64_e32 vcc, v[2:3], v[28:29]
	s_orn2_b64 vcc, vcc, exec
	s_branch .LBB4_648
.LBB4_653:                              ;   in Loop: Header=BB4_83 Depth=1
	s_or_b64 exec, exec, s[66:67]
	s_and_saveexec_b64 vcc, s[68:69]
	s_xor_b64 vcc, exec, vcc
	s_cbranch_execz .LBB4_655
; %bb.654:                              ;   in Loop: Header=BB4_83 Depth=1
	ds_write_b32 v0, v56
	s_trap 2
.LBB4_655:                              ;   in Loop: Header=BB4_83 Depth=1
	s_or_b64 exec, exec, s[64:65]
	;;#ASMSTART
	s_wakeup
	;;#ASMEND
.LBB4_656:                              ;   in Loop: Header=BB4_83 Depth=1
	s_or_b64 exec, exec, s[62:63]
.LBB4_657:                              ;   in Loop: Header=BB4_83 Depth=1
	s_andn2_saveexec_b64 vcc, s[58:59]
	s_cbranch_execz .LBB4_659
; %bb.658:                              ;   in Loop: Header=BB4_83 Depth=1
	s_waitcnt vmcnt(0) lgkmcnt(0)
	buffer_wbinvl1_vol
	s_barrier
.LBB4_659:                              ;   in Loop: Header=BB4_83 Depth=1
	s_or_b64 exec, exec, vcc
.LBB4_660:                              ;   in Loop: Header=BB4_83 Depth=1
	s_or_b64 exec, exec, s[36:37]
	s_trap 2
	ds_read_b32 v1, v0
	v_and_b32_e32 v2, 0x4000, v46
	v_cmp_ne_u32_e32 vcc, 0, v2
	s_xor_b64 s[36:37], s[12:13], -1
	s_and_b64 vcc, s[36:37], vcc
	s_and_saveexec_b64 s[36:37], vcc
	s_cbranch_execz .LBB4_698
; %bb.661:                              ;   in Loop: Header=BB4_83 Depth=1
	s_and_saveexec_b64 vcc, s[52:53]
	s_xor_b64 s[58:59], exec, vcc
	s_cbranch_execz .LBB4_695
; %bb.662:                              ;   in Loop: Header=BB4_83 Depth=1
	s_and_saveexec_b64 s[62:63], s[20:21]
	s_cbranch_execz .LBB4_694
; %bb.663:                              ;   in Loop: Header=BB4_83 Depth=1
	s_mov_b64 s[66:67], exec
	v_mbcnt_lo_u32_b32 v2, s66, 0
	v_mbcnt_hi_u32_b32 v2, s67, v2
	v_cmp_eq_u32_e32 vcc, 0, v2
	s_waitcnt vmcnt(0) lgkmcnt(0)
	buffer_wbinvl1_vol
	s_and_saveexec_b64 s[64:65], vcc
	s_cbranch_execz .LBB4_665
; %bb.664:                              ;   in Loop: Header=BB4_83 Depth=1
	s_bcnt1_i32_b64 vcc_lo, s[66:67]
	v_mov_b32_e32 v2, vcc_lo
	v_mov_b32_e32 v3, v36
	ds_add_u64 v0, v[2:3]
	s_trap 2
.LBB4_665:                              ;   in Loop: Header=BB4_83 Depth=1
	s_or_b64 exec, exec, s[64:65]
	s_trap 2
	ds_read_b64 v[2:3], v0
	v_add_co_u32_e32 v28, vcc, v28, v30
	v_addc_co_u32_e32 v29, vcc, 0, v29, vcc
	s_waitcnt lgkmcnt(0)
	v_cmp_lt_u64_e32 vcc, v[2:3], v[28:29]
	s_and_saveexec_b64 s[64:65], vcc
	s_cbranch_execz .LBB4_693
; %bb.666:                              ;   in Loop: Header=BB4_83 Depth=1
	s_mov_b32 s76, 0
	s_mov_b64 s[66:67], 0
                                        ; implicit-def: $sgpr68_sgpr69
                                        ; implicit-def: $sgpr70_sgpr71
	s_branch .LBB4_668
.LBB4_667:                              ;   in Loop: Header=BB4_668 Depth=2
	s_or_b64 exec, exec, s[74:75]
	s_and_b64 vcc, exec, vcc
	s_or_b64 s[66:67], vcc, s[66:67]
	s_andn2_b64 vcc, s[68:69], exec
	s_and_b64 s[68:69], s[70:71], exec
	s_or_b64 s[68:69], vcc, s[68:69]
	s_andn2_b64 exec, exec, s[66:67]
	s_cbranch_execz .LBB4_691
.LBB4_668:                              ;   Parent Loop BB4_83 Depth=1
                                        ; =>  This Inner Loop Header: Depth=2
	s_add_i32 s76, s76, 1
	s_cmpk_lg_i32 s76, 0x2710
	s_cselect_b64 s[72:73], -1, 0
	s_and_b64 vcc, exec, s[72:73]
                                        ; implicit-def: $sgpr74_sgpr75
	s_cbranch_vccnz .LBB4_670
; %bb.669:                              ;   in Loop: Header=BB4_668 Depth=2
	s_trap 2
	ds_read_b64 v[2:3], v0
	s_andn2_b64 s[72:73], s[72:73], exec
	s_mov_b32 s76, 0
	s_mov_b64 s[74:75], -1
	s_waitcnt lgkmcnt(0)
	flat_load_dword v2, v[2:3] glc
	s_waitcnt vmcnt(0) lgkmcnt(0)
	buffer_invl2
	buffer_wbinvl1_vol
	v_cmp_eq_u32_e32 vcc, 0, v2
	s_and_b64 vcc, vcc, exec
	s_or_b64 s[72:73], s[72:73], vcc
.LBB4_670:                              ;   in Loop: Header=BB4_668 Depth=2
	s_andn2_b64 s[70:71], s[70:71], exec
	s_and_b64 s[74:75], s[74:75], exec
	s_mov_b64 vcc, -1
	s_or_b64 s[70:71], s[70:71], s[74:75]
	s_and_saveexec_b64 s[74:75], s[72:73]
	s_cbranch_execz .LBB4_667
; %bb.671:                              ;   in Loop: Header=BB4_668 Depth=2
	s_sleep 1
	s_trap 2
	ds_read_b64 v[2:3], v0
	s_andn2_b64 s[70:71], s[70:71], exec
	s_waitcnt lgkmcnt(0)
	v_cmp_ge_u64_e32 vcc, v[2:3], v[28:29]
	s_orn2_b64 vcc, vcc, exec
	s_branch .LBB4_667
.LBB4_672:                              ;   in Loop: Header=BB4_83 Depth=1
	s_or_b64 exec, exec, s[68:69]
	s_and_saveexec_b64 vcc, s[70:71]
	s_xor_b64 vcc, exec, vcc
	s_cbranch_execz .LBB4_674
; %bb.673:                              ;   in Loop: Header=BB4_83 Depth=1
	ds_write_b32 v0, v56
	s_trap 2
.LBB4_674:                              ;   in Loop: Header=BB4_83 Depth=1
	s_or_b64 exec, exec, s[66:67]
	;;#ASMSTART
	s_wakeup
	;;#ASMEND
.LBB4_675:                              ;   in Loop: Header=BB4_83 Depth=1
	s_or_b64 exec, exec, s[64:65]
.LBB4_676:                              ;   in Loop: Header=BB4_83 Depth=1
	s_andn2_saveexec_b64 vcc, s[62:63]
	s_cbranch_execz .LBB4_678
; %bb.677:                              ;   in Loop: Header=BB4_83 Depth=1
	s_waitcnt vmcnt(0) lgkmcnt(0)
	buffer_wbinvl1_vol
	s_barrier
.LBB4_678:                              ;   in Loop: Header=BB4_83 Depth=1
	s_or_b64 exec, exec, vcc
.LBB4_679:                              ;   in Loop: Header=BB4_83 Depth=1
	s_or_b64 exec, exec, s[34:35]
	s_trap 2
	ds_read_b32 v1, v0
	v_and_b32_e32 v2, 0x4000, v46
	v_cmp_ne_u32_e32 vcc, 0, v2
	s_xor_b64 s[34:35], s[12:13], -1
	s_and_b64 vcc, s[34:35], vcc
	s_and_saveexec_b64 s[34:35], vcc
	s_cbranch_execz .LBB4_748
; %bb.680:                              ;   in Loop: Header=BB4_83 Depth=1
	s_and_saveexec_b64 vcc, s[52:53]
	s_xor_b64 s[62:63], exec, vcc
	s_cbranch_execz .LBB4_745
; %bb.681:                              ;   in Loop: Header=BB4_83 Depth=1
	s_and_saveexec_b64 s[64:65], s[20:21]
	s_cbranch_execz .LBB4_744
; %bb.682:                              ;   in Loop: Header=BB4_83 Depth=1
	s_mov_b64 s[68:69], exec
	v_mbcnt_lo_u32_b32 v2, s68, 0
	v_mbcnt_hi_u32_b32 v2, s69, v2
	v_cmp_eq_u32_e32 vcc, 0, v2
	s_waitcnt vmcnt(0) lgkmcnt(0)
	buffer_wbinvl1_vol
	s_and_saveexec_b64 s[66:67], vcc
	s_cbranch_execz .LBB4_684
; %bb.683:                              ;   in Loop: Header=BB4_83 Depth=1
	s_bcnt1_i32_b64 vcc_lo, s[68:69]
	v_mov_b32_e32 v2, vcc_lo
	v_mov_b32_e32 v3, v36
	ds_add_u64 v0, v[2:3]
	s_trap 2
.LBB4_684:                              ;   in Loop: Header=BB4_83 Depth=1
	s_or_b64 exec, exec, s[66:67]
	s_trap 2
	ds_read_b64 v[2:3], v0
	v_add_co_u32_e32 v28, vcc, v28, v30
	v_addc_co_u32_e32 v29, vcc, 0, v29, vcc
	s_waitcnt lgkmcnt(0)
	v_cmp_lt_u64_e32 vcc, v[2:3], v[28:29]
	s_and_saveexec_b64 s[66:67], vcc
	s_cbranch_execz .LBB4_743
; %bb.685:                              ;   in Loop: Header=BB4_83 Depth=1
	s_mov_b32 s78, 0
	s_mov_b64 s[68:69], 0
                                        ; implicit-def: $sgpr70_sgpr71
                                        ; implicit-def: $sgpr72_sgpr73
	s_branch .LBB4_687
.LBB4_686:                              ;   in Loop: Header=BB4_687 Depth=2
	s_or_b64 exec, exec, s[76:77]
	s_and_b64 vcc, exec, vcc
	s_or_b64 s[68:69], vcc, s[68:69]
	s_andn2_b64 vcc, s[70:71], exec
	s_and_b64 s[70:71], s[72:73], exec
	s_or_b64 s[70:71], vcc, s[70:71]
	s_andn2_b64 exec, exec, s[68:69]
	s_cbranch_execz .LBB4_741
.LBB4_687:                              ;   Parent Loop BB4_83 Depth=1
                                        ; =>  This Inner Loop Header: Depth=2
	s_add_i32 s78, s78, 1
	s_cmpk_lg_i32 s78, 0x2710
	s_cselect_b64 s[74:75], -1, 0
	s_and_b64 vcc, exec, s[74:75]
                                        ; implicit-def: $sgpr76_sgpr77
	s_cbranch_vccnz .LBB4_689
; %bb.688:                              ;   in Loop: Header=BB4_687 Depth=2
	s_trap 2
	ds_read_b64 v[2:3], v0
	s_andn2_b64 s[74:75], s[74:75], exec
	s_mov_b32 s78, 0
	s_mov_b64 s[76:77], -1
	s_waitcnt lgkmcnt(0)
	flat_load_dword v2, v[2:3] glc
	s_waitcnt vmcnt(0) lgkmcnt(0)
	buffer_invl2
	buffer_wbinvl1_vol
	v_cmp_eq_u32_e32 vcc, 0, v2
	s_and_b64 vcc, vcc, exec
	s_or_b64 s[74:75], s[74:75], vcc
.LBB4_689:                              ;   in Loop: Header=BB4_687 Depth=2
	s_andn2_b64 s[72:73], s[72:73], exec
	s_and_b64 s[76:77], s[76:77], exec
	s_mov_b64 vcc, -1
	s_or_b64 s[72:73], s[72:73], s[76:77]
	s_and_saveexec_b64 s[76:77], s[74:75]
	s_cbranch_execz .LBB4_686
; %bb.690:                              ;   in Loop: Header=BB4_687 Depth=2
	s_sleep 1
	s_trap 2
	ds_read_b64 v[2:3], v0
	s_andn2_b64 s[72:73], s[72:73], exec
	s_waitcnt lgkmcnt(0)
	v_cmp_ge_u64_e32 vcc, v[2:3], v[28:29]
	s_orn2_b64 vcc, vcc, exec
	s_branch .LBB4_686
.LBB4_691:                              ;   in Loop: Header=BB4_83 Depth=1
	s_or_b64 exec, exec, s[66:67]
	s_and_saveexec_b64 vcc, s[68:69]
	s_xor_b64 vcc, exec, vcc
	s_cbranch_execz .LBB4_693
; %bb.692:                              ;   in Loop: Header=BB4_83 Depth=1
	ds_write_b32 v0, v56
	s_trap 2
.LBB4_693:                              ;   in Loop: Header=BB4_83 Depth=1
	s_or_b64 exec, exec, s[64:65]
	;;#ASMSTART
	s_wakeup
	;;#ASMEND
.LBB4_694:                              ;   in Loop: Header=BB4_83 Depth=1
	s_or_b64 exec, exec, s[62:63]
.LBB4_695:                              ;   in Loop: Header=BB4_83 Depth=1
	s_andn2_saveexec_b64 vcc, s[58:59]
	s_cbranch_execz .LBB4_697
; %bb.696:                              ;   in Loop: Header=BB4_83 Depth=1
	s_waitcnt vmcnt(0) lgkmcnt(0)
	buffer_wbinvl1_vol
	s_barrier
.LBB4_697:                              ;   in Loop: Header=BB4_83 Depth=1
	s_or_b64 exec, exec, vcc
.LBB4_698:                              ;   in Loop: Header=BB4_83 Depth=1
	s_or_b64 exec, exec, s[36:37]
	s_trap 2
	ds_read_b64 v[2:3], v0
	v_min_i32_e32 v42, v42, v19
	s_mov_b64 s[36:37], 0
	s_waitcnt lgkmcnt(0)
	v_readfirstlane_b32 vcc_lo, v2
	v_readfirstlane_b32 vcc_hi, v3
	s_cmp_eq_u64 vcc, 0
	s_cselect_b64 vcc, -1, 0
	s_or_b64 vcc, vcc, vcc
	s_and_b64 vcc, exec, vcc
	s_cbranch_vccnz .LBB4_729
; %bb.699:                              ;   in Loop: Header=BB4_83 Depth=1
	s_mov_b64 s[36:37], -1
	s_and_saveexec_b64 s[58:59], s[22:23]
	s_cbranch_execz .LBB4_701
; %bb.700:                              ;   in Loop: Header=BB4_83 Depth=1
	ds_read_b32 v2, v0 offset:720
	s_waitcnt lgkmcnt(0)
	v_and_b32_e32 v2, 15, v2
	v_cmp_eq_u32_e32 vcc, 0, v2
	s_orn2_b64 s[36:37], vcc, exec
.LBB4_701:                              ;   in Loop: Header=BB4_83 Depth=1
	s_or_b64 exec, exec, s[58:59]
	s_and_saveexec_b64 s[58:59], s[26:27]
	s_cbranch_execz .LBB4_703
; %bb.702:                              ;   in Loop: Header=BB4_83 Depth=1
	ds_read_b32 v2, v0 offset:784
	s_waitcnt lgkmcnt(0)
	v_and_b32_e32 v2, 15, v2
	v_cmp_eq_u32_e32 vcc, 0, v2
	s_and_b64 vcc, s[36:37], vcc
	s_andn2_b64 s[36:37], s[36:37], exec
	s_and_b64 vcc, vcc, exec
	s_or_b64 s[36:37], s[36:37], vcc
.LBB4_703:                              ;   in Loop: Header=BB4_83 Depth=1
	s_or_b64 exec, exec, s[58:59]
	v_cmp_eq_u32_e32 vcc, 0, v1
	v_cndmask_b32_e32 v14, 0, v42, vcc
	s_xor_b64 vcc, s[36:37], -1
	v_cndmask_b32_e64 v1, 0, 1, vcc
	v_mov_b32_e32 v15, 0
	s_mov_b64 s[62:63], -1
	;;#ASMSTART
	;;#ASMEND
	v_cmp_ne_u32_e32 vcc, 0, v1
	v_mov_b32_e32 v37, v14
	v_mov_b32_e32 v31, v0
	s_cbranch_vccnz .LBB4_715
; %bb.704:                              ;   in Loop: Header=BB4_83 Depth=1
	v_ashrrev_i32_e32 v1, 31, v14
	v_lshrrev_b32_e32 v1, 22, v1
	v_accvgpr_read_b32 v2, a10
	v_add_u32_e32 v1, v14, v1
	v_sub_u32_e32 v15, v14, v2
	v_ashrrev_i32_e32 v2, 10, v1
	v_and_b32_e32 v1, 0xfffffc00, v1
	v_accvgpr_read_b32 v3, a11
	v_sub_u32_e32 v38, v14, v1
	v_cmp_lt_i32_e32 vcc, 15, v38
	v_accvgpr_read_b32 v3, a13
	v_addc_co_u32_e64 v10, s[36:37], v2, v3, vcc
	v_cmp_lt_i32_e64 s[36:37], 15, v15
	s_and_saveexec_b64 s[58:59], s[36:37]
	s_cbranch_execz .LBB4_708
; %bb.705:                              ;   in Loop: Header=BB4_83 Depth=1
	s_trap 2
	ds_read_b64 v[2:3], v0
	v_accvgpr_read_b32 v13, a11
	s_mov_b64 s[62:63], 0
	v_accvgpr_read_b32 v12, a10
.LBB4_706:                              ;   Parent Loop BB4_83 Depth=1
                                        ; =>  This Inner Loop Header: Depth=2
	s_waitcnt lgkmcnt(0)
	v_add_co_u32_e64 v44, s[36:37], v2, v12
	v_addc_co_u32_e64 v45, s[36:37], v3, v13, s[36:37]
	global_load_dwordx4 v[50:53], v[44:45], off glc slc
	v_add_co_u32_e64 v12, s[36:37], v12, v25
	v_sub_u32_e32 v15, v15, v57
	v_addc_co_u32_e64 v13, s[36:37], v13, v18, s[36:37]
	v_cmp_gt_i32_e64 s[36:37], 16, v15
	v_sub_u32_e32 v10, v10, v30
	s_or_b64 s[62:63], s[36:37], s[62:63]
	s_waitcnt vmcnt(0)
	global_store_dwordx4 v[44:45], v[50:53], off glc slc
	s_andn2_b64 exec, exec, s[62:63]
	s_cbranch_execnz .LBB4_706
; %bb.707:                              ;   in Loop: Header=BB4_83 Depth=1
	s_or_b64 exec, exec, s[62:63]
	v_accvgpr_read_b32 v53, a7
	v_accvgpr_read_b32 v52, a6
.LBB4_708:                              ;   in Loop: Header=BB4_83 Depth=1
	s_or_b64 exec, exec, s[58:59]
	v_and_b32_e32 v2, 15, v14
	v_cndmask_b32_e32 v12, v38, v2, vcc
	v_cmp_ne_u32_e64 s[36:37], 0, v12
	s_mov_b64 s[62:63], 0
	v_mov_b32_e32 v15, 0
                                        ; implicit-def: $vgpr37
                                        ; implicit-def: $vgpr31
	s_and_saveexec_b64 s[58:59], s[36:37]
	s_cbranch_execz .LBB4_714
; %bb.709:                              ;   in Loop: Header=BB4_83 Depth=1
	v_sub_u32_e32 v2, v38, v2
	v_cndmask_b32_e32 v2, 0, v2, vcc
	v_cmp_lt_i32_e32 vcc, 0, v10
	v_add_u32_e32 v13, v2, v1
	v_cndmask_b32_e32 v1, 0, v30, vcc
	v_sub_u32_e32 v1, v1, v10
	v_accvgpr_read_b32 v2, a12
	v_lshl_add_u32 v1, v1, 6, v2
	v_ashrrev_i32_e32 v2, 31, v1
	v_lshrrev_b32_e32 v2, 26, v2
	v_add_u32_e32 v2, v1, v2
	v_ashrrev_i32_e32 v3, 6, v2
	v_and_b32_e32 v2, 0xffffffc0, v2
	v_sub_u32_e32 v31, v1, v2
	v_ashrrev_i32_e32 v2, 31, v12
	v_lshrrev_b32_e32 v2, 22, v2
	v_add_u32_e32 v2, v12, v2
	v_and_b32_e32 v15, 0xfffffc00, v2
	v_lshlrev_b32_e32 v1, 4, v31
	v_sub_u32_e32 v37, v12, v15
	v_lshl_add_u32 v1, v3, 10, v1
	v_ashrrev_i32_e32 v10, 10, v2
	v_cmp_lt_i32_e32 vcc, 15, v37
	v_sub_u32_e32 v39, v12, v1
	v_addc_co_u32_e64 v2, s[36:37], 0, v10, vcc
	v_sub_u32_e32 v38, v2, v3
	v_cmp_lt_i32_e64 s[36:37], 15, v39
	s_and_saveexec_b64 s[62:63], s[36:37]
	s_cbranch_execz .LBB4_713
; %bb.710:                              ;   in Loop: Header=BB4_83 Depth=1
	s_trap 2
	ds_read_b64 v[2:3], v0
	v_add_u32_e32 v10, v1, v13
	v_ashrrev_i32_e32 v1, 31, v10
	s_mov_b64 s[64:65], 0
.LBB4_711:                              ;   Parent Loop BB4_83 Depth=1
                                        ; =>  This Inner Loop Header: Depth=2
	s_waitcnt lgkmcnt(0)
	v_add_co_u32_e64 v44, s[36:37], v2, v10
	v_addc_co_u32_e64 v45, s[36:37], v3, v1, s[36:37]
	global_load_dwordx4 v[50:53], v[44:45], off glc slc
	v_add_co_u32_e64 v10, s[36:37], v10, v25
	v_sub_u32_e32 v39, v39, v57
	v_addc_co_u32_e64 v1, s[36:37], v1, v18, s[36:37]
	v_cmp_gt_i32_e64 s[36:37], 16, v39
	v_sub_u32_e32 v38, v38, v30
	s_or_b64 s[64:65], s[36:37], s[64:65]
	s_waitcnt vmcnt(0)
	global_store_dwordx4 v[44:45], v[50:53], off glc slc
	s_andn2_b64 exec, exec, s[64:65]
	s_cbranch_execnz .LBB4_711
; %bb.712:                              ;   in Loop: Header=BB4_83 Depth=1
	s_or_b64 exec, exec, s[64:65]
	v_accvgpr_read_b32 v53, a7
	v_accvgpr_read_b32 v52, a6
.LBB4_713:                              ;   in Loop: Header=BB4_83 Depth=1
	s_or_b64 exec, exec, s[62:63]
	v_and_b32_e32 v1, 15, v12
	v_sub_u32_e32 v2, v37, v1
	v_cndmask_b32_e32 v2, 0, v2, vcc
	v_cndmask_b32_e32 v37, v37, v1, vcc
	v_cmp_lt_i32_e32 vcc, 0, v38
	v_cndmask_b32_e32 v1, 0, v30, vcc
	v_sub_u32_e32 v1, v1, v38
	v_cmp_ne_u32_e32 vcc, 0, v37
	v_add3_u32 v15, v15, v13, v2
	v_lshl_add_u32 v31, v1, 6, v31
	s_and_b64 s[62:63], vcc, exec
.LBB4_714:                              ;   in Loop: Header=BB4_83 Depth=1
	s_or_b64 exec, exec, s[58:59]
.LBB4_715:                              ;   in Loop: Header=BB4_83 Depth=1
	s_and_saveexec_b64 s[36:37], s[62:63]
	s_cbranch_execz .LBB4_724
; %bb.716:                              ;   in Loop: Header=BB4_83 Depth=1
	v_ashrrev_i32_e32 v1, 31, v31
	v_ashrrev_i32_e32 v2, 31, v37
	v_lshrrev_b32_e32 v1, 26, v1
	v_lshrrev_b32_e32 v2, 23, v2
	v_add_u32_e32 v1, v31, v1
	v_add_u32_e32 v2, v37, v2
	v_ashrrev_i32_e32 v38, 6, v1
	v_ashrrev_i32_e32 v55, 9, v2
	v_sub_u32_e32 v39, v55, v38
	v_cmp_lt_i32_e32 vcc, 0, v39
	s_and_saveexec_b64 s[58:59], vcc
	s_cbranch_execz .LBB4_720
; %bb.717:                              ;   in Loop: Header=BB4_83 Depth=1
	s_trap 2
	ds_read_b64 v[2:3], v0
	v_and_b32_e32 v1, 0xffffffc0, v1
	v_sub_u32_e32 v1, v31, v1
	v_lshlrev_b32_e32 v10, 9, v38
	v_add3_u32 v10, v15, v1, v10
	v_ashrrev_i32_e32 v1, 31, v10
	s_mov_b64 s[62:63], 0
	s_waitcnt lgkmcnt(0)
	v_pk_mov_b32 v[12:13], v[2:3], v[2:3] op_sel:[0,1]
.LBB4_718:                              ;   Parent Loop BB4_83 Depth=1
                                        ; =>  This Inner Loop Header: Depth=2
	v_add_co_u32_e32 v50, vcc, v10, v12
	v_addc_co_u32_e32 v51, vcc, v1, v13, vcc
	flat_load_ubyte v20, v[50:51] glc slc
	flat_load_ubyte v52, v[50:51] offset:64 glc slc
	flat_load_ubyte v53, v[50:51] offset:128 glc slc
	;; [unrolled: 1-line block ×7, first 2 shown]
	v_add_co_u32_e32 v50, vcc, v10, v2
	v_addc_co_u32_e32 v51, vcc, v1, v3, vcc
	v_add_co_u32_e32 v12, vcc, v12, v58
	v_addc_co_u32_e32 v13, vcc, v13, v59, vcc
	v_add_co_u32_e32 v2, vcc, v2, v58
	v_sub_u32_e32 v39, v39, v30
	v_addc_co_u32_e32 v3, vcc, v3, v59, vcc
	v_cmp_gt_i32_e32 vcc, 1, v39
	s_or_b64 s[62:63], vcc, s[62:63]
	s_waitcnt vmcnt(0) lgkmcnt(0)
	flat_store_byte v[50:51], v20 glc slc
	flat_store_byte v[50:51], v52 offset:64 glc slc
	flat_store_byte v[50:51], v53 offset:128 glc slc
	;; [unrolled: 1-line block ×7, first 2 shown]
	s_andn2_b64 exec, exec, s[62:63]
	s_cbranch_execnz .LBB4_718
; %bb.719:                              ;   in Loop: Header=BB4_83 Depth=1
	s_or_b64 exec, exec, s[62:63]
	v_accvgpr_read_b32 v53, a7
	v_accvgpr_read_b32 v52, a6
	v_mov_b32_e32 v56, 1
.LBB4_720:                              ;   in Loop: Header=BB4_83 Depth=1
	s_or_b64 exec, exec, s[58:59]
	v_lshlrev_b32_e32 v1, 9, v55
	v_cmp_ne_u32_e32 vcc, v37, v1
	s_and_b64 exec, exec, vcc
	s_cbranch_execz .LBB4_724
; %bb.721:                              ;   in Loop: Header=BB4_83 Depth=1
	v_lshlrev_b32_e32 v2, 6, v38
	v_sub_u32_e32 v2, v31, v2
	v_lshlrev_b32_e32 v3, 6, v39
	v_sub_u32_e32 v2, v2, v3
	v_add_u32_e32 v1, v1, v2
	v_sub_u32_e32 v12, v37, v1
	v_cmp_lt_i32_e32 vcc, 0, v12
	s_and_b64 exec, exec, vcc
	s_cbranch_execz .LBB4_724
; %bb.722:                              ;   in Loop: Header=BB4_83 Depth=1
	s_trap 2
	ds_read_b64 v[2:3], v0
	v_add_u32_e32 v10, v1, v15
	v_ashrrev_i32_e32 v1, 31, v10
	s_mov_b64 s[58:59], 0
.LBB4_723:                              ;   Parent Loop BB4_83 Depth=1
                                        ; =>  This Inner Loop Header: Depth=2
	s_waitcnt lgkmcnt(0)
	v_add_co_u32_e32 v38, vcc, v2, v10
	v_addc_co_u32_e32 v39, vcc, v3, v1, vcc
	flat_load_ubyte v13, v[38:39] glc slc
	v_add_co_u32_e32 v10, vcc, v10, v60
	v_sub_u32_e32 v12, v12, v47
	v_addc_co_u32_e32 v1, vcc, v1, v61, vcc
	v_cmp_gt_i32_e32 vcc, 1, v12
	s_or_b64 s[58:59], vcc, s[58:59]
	s_waitcnt vmcnt(0) lgkmcnt(0)
	flat_store_byte v[38:39], v13 glc slc
	s_andn2_b64 exec, exec, s[58:59]
	s_cbranch_execnz .LBB4_723
.LBB4_724:                              ;   in Loop: Header=BB4_83 Depth=1
	s_or_b64 exec, exec, s[36:37]
	v_cmp_lt_i32_e64 s[36:37], 0, v14
	s_and_saveexec_b64 s[58:59], s[14:15]
	s_cbranch_execnz .LBB4_730
.LBB4_725:                              ;   in Loop: Header=BB4_83 Depth=1
	s_or_b64 exec, exec, s[58:59]
	s_and_saveexec_b64 vcc, s[28:29]
	s_xor_b64 s[58:59], exec, vcc
	s_cbranch_execz .LBB4_799
.LBB4_726:                              ;   in Loop: Header=BB4_83 Depth=1
	v_and_b32_e32 v1, 16, v46
	v_cmp_ne_u32_e32 vcc, 0, v1
	s_and_b64 s[36:37], vcc, s[36:37]
	s_and_saveexec_b64 vcc, s[36:37]
	s_cbranch_execz .LBB4_728
; %bb.727:                              ;   in Loop: Header=BB4_83 Depth=1
	s_waitcnt vmcnt(0) lgkmcnt(0)
	buffer_wbinvl1_vol
.LBB4_728:                              ;   in Loop: Header=BB4_83 Depth=1
	s_or_b64 exec, exec, vcc
	s_andn2_saveexec_b64 s[36:37], s[58:59]
	s_cbranch_execz .LBB4_837
	s_branch .LBB4_800
.LBB4_729:                              ;   in Loop: Header=BB4_83 Depth=1
	s_and_saveexec_b64 s[58:59], s[14:15]
	s_cbranch_execz .LBB4_725
.LBB4_730:                              ;   in Loop: Header=BB4_83 Depth=1
	s_and_saveexec_b64 vcc, s[52:53]
	s_xor_b64 s[62:63], exec, vcc
	s_cbranch_execz .LBB4_796
; %bb.731:                              ;   in Loop: Header=BB4_83 Depth=1
	s_and_saveexec_b64 s[64:65], s[20:21]
	s_cbranch_execz .LBB4_795
; %bb.732:                              ;   in Loop: Header=BB4_83 Depth=1
	s_mov_b64 s[68:69], exec
	v_mbcnt_lo_u32_b32 v1, s68, 0
	v_mbcnt_hi_u32_b32 v1, s69, v1
	v_cmp_eq_u32_e32 vcc, 0, v1
	s_waitcnt vmcnt(0) lgkmcnt(0)
	buffer_wbinvl1_vol
	s_and_saveexec_b64 s[66:67], vcc
	s_cbranch_execz .LBB4_734
; %bb.733:                              ;   in Loop: Header=BB4_83 Depth=1
	s_bcnt1_i32_b64 vcc_lo, s[68:69]
	v_mov_b32_e32 v2, vcc_lo
	v_mov_b32_e32 v3, v36
	ds_add_u64 v0, v[2:3]
	s_trap 2
.LBB4_734:                              ;   in Loop: Header=BB4_83 Depth=1
	s_or_b64 exec, exec, s[66:67]
	s_trap 2
	ds_read_b64 v[2:3], v0
	v_add_co_u32_e32 v28, vcc, v28, v30
	v_addc_co_u32_e32 v29, vcc, 0, v29, vcc
	s_waitcnt lgkmcnt(0)
	v_cmp_lt_u64_e32 vcc, v[2:3], v[28:29]
	s_and_saveexec_b64 s[66:67], vcc
	s_cbranch_execz .LBB4_794
; %bb.735:                              ;   in Loop: Header=BB4_83 Depth=1
	s_mov_b32 s78, 0
	s_mov_b64 s[68:69], 0
                                        ; implicit-def: $sgpr70_sgpr71
                                        ; implicit-def: $sgpr72_sgpr73
	s_branch .LBB4_737
.LBB4_736:                              ;   in Loop: Header=BB4_737 Depth=2
	s_or_b64 exec, exec, s[76:77]
	s_and_b64 vcc, exec, vcc
	s_or_b64 s[68:69], vcc, s[68:69]
	s_andn2_b64 vcc, s[70:71], exec
	s_and_b64 s[70:71], s[72:73], exec
	s_or_b64 s[70:71], vcc, s[70:71]
	s_andn2_b64 exec, exec, s[68:69]
	s_cbranch_execz .LBB4_792
.LBB4_737:                              ;   Parent Loop BB4_83 Depth=1
                                        ; =>  This Inner Loop Header: Depth=2
	s_add_i32 s78, s78, 1
	s_cmpk_lg_i32 s78, 0x2710
	s_cselect_b64 s[74:75], -1, 0
	s_and_b64 vcc, exec, s[74:75]
                                        ; implicit-def: $sgpr76_sgpr77
	s_cbranch_vccnz .LBB4_739
; %bb.738:                              ;   in Loop: Header=BB4_737 Depth=2
	s_trap 2
	ds_read_b64 v[2:3], v0
	s_andn2_b64 s[74:75], s[74:75], exec
	s_mov_b32 s78, 0
	s_mov_b64 s[76:77], -1
	s_waitcnt lgkmcnt(0)
	flat_load_dword v1, v[2:3] glc
	s_waitcnt vmcnt(0) lgkmcnt(0)
	buffer_invl2
	buffer_wbinvl1_vol
	v_cmp_eq_u32_e32 vcc, 0, v1
	s_and_b64 vcc, vcc, exec
	s_or_b64 s[74:75], s[74:75], vcc
.LBB4_739:                              ;   in Loop: Header=BB4_737 Depth=2
	s_andn2_b64 s[72:73], s[72:73], exec
	s_and_b64 s[76:77], s[76:77], exec
	s_mov_b64 vcc, -1
	s_or_b64 s[72:73], s[72:73], s[76:77]
	s_and_saveexec_b64 s[76:77], s[74:75]
	s_cbranch_execz .LBB4_736
; %bb.740:                              ;   in Loop: Header=BB4_737 Depth=2
	s_sleep 1
	s_trap 2
	ds_read_b64 v[2:3], v0
	s_andn2_b64 s[72:73], s[72:73], exec
	s_waitcnt lgkmcnt(0)
	v_cmp_ge_u64_e32 vcc, v[2:3], v[28:29]
	s_orn2_b64 vcc, vcc, exec
	s_branch .LBB4_736
.LBB4_741:                              ;   in Loop: Header=BB4_83 Depth=1
	s_or_b64 exec, exec, s[68:69]
	s_and_saveexec_b64 vcc, s[70:71]
	s_xor_b64 vcc, exec, vcc
	s_cbranch_execz .LBB4_743
; %bb.742:                              ;   in Loop: Header=BB4_83 Depth=1
	ds_write_b32 v0, v56
	s_trap 2
.LBB4_743:                              ;   in Loop: Header=BB4_83 Depth=1
	s_or_b64 exec, exec, s[66:67]
	;;#ASMSTART
	s_wakeup
	;;#ASMEND
.LBB4_744:                              ;   in Loop: Header=BB4_83 Depth=1
	s_or_b64 exec, exec, s[64:65]
.LBB4_745:                              ;   in Loop: Header=BB4_83 Depth=1
	s_andn2_saveexec_b64 vcc, s[62:63]
	s_cbranch_execz .LBB4_747
; %bb.746:                              ;   in Loop: Header=BB4_83 Depth=1
	s_waitcnt vmcnt(0) lgkmcnt(0)
	buffer_wbinvl1_vol
	s_barrier
.LBB4_747:                              ;   in Loop: Header=BB4_83 Depth=1
	s_or_b64 exec, exec, vcc
.LBB4_748:                              ;   in Loop: Header=BB4_83 Depth=1
	s_or_b64 exec, exec, s[34:35]
	s_trap 2
	ds_read_b64 v[2:3], v0
	s_mov_b64 s[34:35], 0
	s_waitcnt lgkmcnt(0)
	v_readfirstlane_b32 vcc_lo, v2
	v_readfirstlane_b32 vcc_hi, v3
	s_cmp_eq_u64 vcc, 0
	s_cselect_b64 vcc, -1, 0
	s_or_b64 vcc, vcc, vcc
	s_and_b64 vcc, exec, vcc
	s_cbranch_vccnz .LBB4_780
; %bb.749:                              ;   in Loop: Header=BB4_83 Depth=1
	s_mov_b64 s[34:35], -1
	s_and_saveexec_b64 s[62:63], s[26:27]
	s_cbranch_execz .LBB4_751
; %bb.750:                              ;   in Loop: Header=BB4_83 Depth=1
	ds_read_b32 v2, v0 offset:720
	s_waitcnt lgkmcnt(0)
	v_and_b32_e32 v2, 15, v2
	v_cmp_eq_u32_e32 vcc, 0, v2
	s_orn2_b64 s[34:35], vcc, exec
.LBB4_751:                              ;   in Loop: Header=BB4_83 Depth=1
	s_or_b64 exec, exec, s[62:63]
	s_and_saveexec_b64 s[62:63], s[22:23]
	s_cbranch_execz .LBB4_753
; %bb.752:                              ;   in Loop: Header=BB4_83 Depth=1
	ds_read_b32 v2, v0 offset:784
	s_waitcnt lgkmcnt(0)
	v_and_b32_e32 v2, 15, v2
	v_cmp_eq_u32_e32 vcc, 0, v2
	s_and_b64 vcc, s[34:35], vcc
	s_andn2_b64 s[34:35], s[34:35], exec
	s_and_b64 vcc, vcc, exec
	s_or_b64 s[34:35], s[34:35], vcc
.LBB4_753:                              ;   in Loop: Header=BB4_83 Depth=1
	s_or_b64 exec, exec, s[62:63]
	v_cmp_eq_u32_e32 vcc, 0, v1
	v_cndmask_b32_e32 v14, 0, v42, vcc
	s_xor_b64 vcc, s[34:35], -1
	v_cndmask_b32_e64 v1, 0, 1, vcc
	v_mov_b32_e32 v15, 0
	s_mov_b64 s[64:65], -1
	;;#ASMSTART
	;;#ASMEND
	v_cmp_ne_u32_e32 vcc, 0, v1
	v_mov_b32_e32 v37, v14
	v_mov_b32_e32 v31, v0
	s_cbranch_vccnz .LBB4_765
; %bb.754:                              ;   in Loop: Header=BB4_83 Depth=1
	v_ashrrev_i32_e32 v1, 31, v14
	v_lshrrev_b32_e32 v1, 22, v1
	v_accvgpr_read_b32 v2, a10
	v_add_u32_e32 v1, v14, v1
	v_sub_u32_e32 v15, v14, v2
	v_ashrrev_i32_e32 v2, 10, v1
	v_and_b32_e32 v1, 0xfffffc00, v1
	v_accvgpr_read_b32 v3, a11
	v_sub_u32_e32 v38, v14, v1
	v_cmp_lt_i32_e32 vcc, 15, v38
	v_accvgpr_read_b32 v3, a13
	v_addc_co_u32_e64 v10, s[34:35], v2, v3, vcc
	v_cmp_lt_i32_e64 s[34:35], 15, v15
	s_and_saveexec_b64 s[62:63], s[34:35]
	s_cbranch_execz .LBB4_758
; %bb.755:                              ;   in Loop: Header=BB4_83 Depth=1
	s_trap 2
	ds_read_b64 v[2:3], v0
	v_accvgpr_read_b32 v13, a11
	s_mov_b64 s[64:65], 0
	v_accvgpr_read_b32 v12, a10
.LBB4_756:                              ;   Parent Loop BB4_83 Depth=1
                                        ; =>  This Inner Loop Header: Depth=2
	s_waitcnt lgkmcnt(0)
	v_add_co_u32_e64 v44, s[34:35], v2, v12
	v_addc_co_u32_e64 v45, s[34:35], v3, v13, s[34:35]
	global_load_dwordx4 v[50:53], v[44:45], off glc slc
	v_add_co_u32_e64 v12, s[34:35], v12, v25
	v_sub_u32_e32 v15, v15, v57
	v_addc_co_u32_e64 v13, s[34:35], v13, v18, s[34:35]
	v_cmp_gt_i32_e64 s[34:35], 16, v15
	v_sub_u32_e32 v10, v10, v30
	s_or_b64 s[64:65], s[34:35], s[64:65]
	s_waitcnt vmcnt(0)
	global_store_dwordx4 v[44:45], v[50:53], off glc slc
	s_andn2_b64 exec, exec, s[64:65]
	s_cbranch_execnz .LBB4_756
; %bb.757:                              ;   in Loop: Header=BB4_83 Depth=1
	s_or_b64 exec, exec, s[64:65]
	v_accvgpr_read_b32 v53, a7
	v_accvgpr_read_b32 v52, a6
.LBB4_758:                              ;   in Loop: Header=BB4_83 Depth=1
	s_or_b64 exec, exec, s[62:63]
	v_and_b32_e32 v2, 15, v14
	v_cndmask_b32_e32 v12, v38, v2, vcc
	v_cmp_ne_u32_e64 s[34:35], 0, v12
	s_mov_b64 s[64:65], 0
	v_mov_b32_e32 v15, 0
                                        ; implicit-def: $vgpr37
                                        ; implicit-def: $vgpr31
	s_and_saveexec_b64 s[62:63], s[34:35]
	s_cbranch_execz .LBB4_764
; %bb.759:                              ;   in Loop: Header=BB4_83 Depth=1
	v_sub_u32_e32 v2, v38, v2
	v_cndmask_b32_e32 v2, 0, v2, vcc
	v_cmp_lt_i32_e32 vcc, 0, v10
	v_add_u32_e32 v13, v2, v1
	v_cndmask_b32_e32 v1, 0, v30, vcc
	v_sub_u32_e32 v1, v1, v10
	v_accvgpr_read_b32 v2, a12
	v_lshl_add_u32 v1, v1, 6, v2
	v_ashrrev_i32_e32 v2, 31, v1
	v_lshrrev_b32_e32 v2, 26, v2
	v_add_u32_e32 v2, v1, v2
	v_ashrrev_i32_e32 v3, 6, v2
	v_and_b32_e32 v2, 0xffffffc0, v2
	v_sub_u32_e32 v31, v1, v2
	v_ashrrev_i32_e32 v2, 31, v12
	v_lshrrev_b32_e32 v2, 22, v2
	v_add_u32_e32 v2, v12, v2
	v_and_b32_e32 v15, 0xfffffc00, v2
	v_lshlrev_b32_e32 v1, 4, v31
	v_sub_u32_e32 v37, v12, v15
	v_lshl_add_u32 v1, v3, 10, v1
	v_ashrrev_i32_e32 v10, 10, v2
	v_cmp_lt_i32_e32 vcc, 15, v37
	v_sub_u32_e32 v39, v12, v1
	v_addc_co_u32_e64 v2, s[34:35], 0, v10, vcc
	v_sub_u32_e32 v38, v2, v3
	v_cmp_lt_i32_e64 s[34:35], 15, v39
	s_and_saveexec_b64 s[64:65], s[34:35]
	s_cbranch_execz .LBB4_763
; %bb.760:                              ;   in Loop: Header=BB4_83 Depth=1
	s_trap 2
	ds_read_b64 v[2:3], v0
	v_add_u32_e32 v10, v1, v13
	v_ashrrev_i32_e32 v1, 31, v10
	s_mov_b64 s[66:67], 0
.LBB4_761:                              ;   Parent Loop BB4_83 Depth=1
                                        ; =>  This Inner Loop Header: Depth=2
	s_waitcnt lgkmcnt(0)
	v_add_co_u32_e64 v44, s[34:35], v2, v10
	v_addc_co_u32_e64 v45, s[34:35], v3, v1, s[34:35]
	global_load_dwordx4 v[50:53], v[44:45], off glc slc
	v_add_co_u32_e64 v10, s[34:35], v10, v25
	v_sub_u32_e32 v39, v39, v57
	v_addc_co_u32_e64 v1, s[34:35], v1, v18, s[34:35]
	v_cmp_gt_i32_e64 s[34:35], 16, v39
	v_sub_u32_e32 v38, v38, v30
	s_or_b64 s[66:67], s[34:35], s[66:67]
	s_waitcnt vmcnt(0)
	global_store_dwordx4 v[44:45], v[50:53], off glc slc
	s_andn2_b64 exec, exec, s[66:67]
	s_cbranch_execnz .LBB4_761
; %bb.762:                              ;   in Loop: Header=BB4_83 Depth=1
	s_or_b64 exec, exec, s[66:67]
	v_accvgpr_read_b32 v53, a7
	v_accvgpr_read_b32 v52, a6
.LBB4_763:                              ;   in Loop: Header=BB4_83 Depth=1
	s_or_b64 exec, exec, s[64:65]
	v_and_b32_e32 v1, 15, v12
	v_sub_u32_e32 v2, v37, v1
	v_cndmask_b32_e32 v2, 0, v2, vcc
	v_cndmask_b32_e32 v37, v37, v1, vcc
	v_cmp_lt_i32_e32 vcc, 0, v38
	v_cndmask_b32_e32 v1, 0, v30, vcc
	v_sub_u32_e32 v1, v1, v38
	v_cmp_ne_u32_e32 vcc, 0, v37
	v_add3_u32 v15, v15, v13, v2
	v_lshl_add_u32 v31, v1, 6, v31
	s_and_b64 s[64:65], vcc, exec
.LBB4_764:                              ;   in Loop: Header=BB4_83 Depth=1
	s_or_b64 exec, exec, s[62:63]
.LBB4_765:                              ;   in Loop: Header=BB4_83 Depth=1
	s_and_saveexec_b64 s[34:35], s[64:65]
	s_cbranch_execz .LBB4_774
; %bb.766:                              ;   in Loop: Header=BB4_83 Depth=1
	v_ashrrev_i32_e32 v1, 31, v31
	v_ashrrev_i32_e32 v2, 31, v37
	v_lshrrev_b32_e32 v1, 26, v1
	v_lshrrev_b32_e32 v2, 23, v2
	v_add_u32_e32 v1, v31, v1
	v_add_u32_e32 v2, v37, v2
	v_ashrrev_i32_e32 v38, 6, v1
	v_ashrrev_i32_e32 v55, 9, v2
	v_sub_u32_e32 v39, v55, v38
	v_cmp_lt_i32_e32 vcc, 0, v39
	s_and_saveexec_b64 s[62:63], vcc
	s_cbranch_execz .LBB4_770
; %bb.767:                              ;   in Loop: Header=BB4_83 Depth=1
	s_trap 2
	ds_read_b64 v[2:3], v0
	v_and_b32_e32 v1, 0xffffffc0, v1
	v_sub_u32_e32 v1, v31, v1
	v_lshlrev_b32_e32 v10, 9, v38
	v_add3_u32 v10, v15, v1, v10
	v_ashrrev_i32_e32 v1, 31, v10
	s_mov_b64 s[64:65], 0
	s_waitcnt lgkmcnt(0)
	v_pk_mov_b32 v[12:13], v[2:3], v[2:3] op_sel:[0,1]
.LBB4_768:                              ;   Parent Loop BB4_83 Depth=1
                                        ; =>  This Inner Loop Header: Depth=2
	v_add_co_u32_e32 v50, vcc, v10, v12
	v_addc_co_u32_e32 v51, vcc, v1, v13, vcc
	flat_load_ubyte v20, v[50:51] glc slc
	flat_load_ubyte v52, v[50:51] offset:64 glc slc
	flat_load_ubyte v53, v[50:51] offset:128 glc slc
	;; [unrolled: 1-line block ×7, first 2 shown]
	v_add_co_u32_e32 v50, vcc, v10, v2
	v_addc_co_u32_e32 v51, vcc, v1, v3, vcc
	v_add_co_u32_e32 v12, vcc, v12, v58
	v_addc_co_u32_e32 v13, vcc, v13, v59, vcc
	v_add_co_u32_e32 v2, vcc, v2, v58
	v_sub_u32_e32 v39, v39, v30
	v_addc_co_u32_e32 v3, vcc, v3, v59, vcc
	v_cmp_gt_i32_e32 vcc, 1, v39
	s_or_b64 s[64:65], vcc, s[64:65]
	s_waitcnt vmcnt(0) lgkmcnt(0)
	flat_store_byte v[50:51], v20 glc slc
	flat_store_byte v[50:51], v52 offset:64 glc slc
	flat_store_byte v[50:51], v53 offset:128 glc slc
	;; [unrolled: 1-line block ×7, first 2 shown]
	s_andn2_b64 exec, exec, s[64:65]
	s_cbranch_execnz .LBB4_768
; %bb.769:                              ;   in Loop: Header=BB4_83 Depth=1
	s_or_b64 exec, exec, s[64:65]
	v_accvgpr_read_b32 v53, a7
	v_accvgpr_read_b32 v52, a6
	v_mov_b32_e32 v56, 1
.LBB4_770:                              ;   in Loop: Header=BB4_83 Depth=1
	s_or_b64 exec, exec, s[62:63]
	v_lshlrev_b32_e32 v1, 9, v55
	v_cmp_ne_u32_e32 vcc, v37, v1
	s_and_b64 exec, exec, vcc
	s_cbranch_execz .LBB4_774
; %bb.771:                              ;   in Loop: Header=BB4_83 Depth=1
	v_lshlrev_b32_e32 v2, 6, v38
	v_sub_u32_e32 v2, v31, v2
	v_lshlrev_b32_e32 v3, 6, v39
	v_sub_u32_e32 v2, v2, v3
	v_add_u32_e32 v1, v1, v2
	v_sub_u32_e32 v12, v37, v1
	v_cmp_lt_i32_e32 vcc, 0, v12
	s_and_b64 exec, exec, vcc
	s_cbranch_execz .LBB4_774
; %bb.772:                              ;   in Loop: Header=BB4_83 Depth=1
	s_trap 2
	ds_read_b64 v[2:3], v0
	v_add_u32_e32 v10, v1, v15
	v_ashrrev_i32_e32 v1, 31, v10
	s_mov_b64 s[62:63], 0
.LBB4_773:                              ;   Parent Loop BB4_83 Depth=1
                                        ; =>  This Inner Loop Header: Depth=2
	s_waitcnt lgkmcnt(0)
	v_add_co_u32_e32 v38, vcc, v2, v10
	v_addc_co_u32_e32 v39, vcc, v3, v1, vcc
	flat_load_ubyte v13, v[38:39] glc slc
	v_add_co_u32_e32 v10, vcc, v10, v60
	v_sub_u32_e32 v12, v12, v47
	v_addc_co_u32_e32 v1, vcc, v1, v61, vcc
	v_cmp_gt_i32_e32 vcc, 1, v12
	s_or_b64 s[62:63], vcc, s[62:63]
	s_waitcnt vmcnt(0) lgkmcnt(0)
	flat_store_byte v[38:39], v13 glc slc
	s_andn2_b64 exec, exec, s[62:63]
	s_cbranch_execnz .LBB4_773
.LBB4_774:                              ;   in Loop: Header=BB4_83 Depth=1
	s_or_b64 exec, exec, s[34:35]
	v_cmp_lt_i32_e64 s[34:35], 0, v14
	s_and_saveexec_b64 s[62:63], s[14:15]
	s_cbranch_execnz .LBB4_781
.LBB4_775:                              ;   in Loop: Header=BB4_83 Depth=1
	s_or_b64 exec, exec, s[62:63]
                                        ; implicit-def: $vgpr1
	s_and_saveexec_b64 vcc, s[28:29]
	s_xor_b64 s[62:63], exec, vcc
	s_cbranch_execz .LBB4_818
.LBB4_776:                              ;   in Loop: Header=BB4_83 Depth=1
	v_and_b32_e32 v2, 16, v46
	v_cmp_ne_u32_e32 vcc, 0, v2
	v_and_b32_e32 v1, 16, v46
	s_and_b64 s[34:35], vcc, s[34:35]
	s_and_saveexec_b64 vcc, s[34:35]
	s_cbranch_execz .LBB4_778
; %bb.777:                              ;   in Loop: Header=BB4_83 Depth=1
	v_mov_b32_e32 v1, 1
	s_waitcnt vmcnt(0) lgkmcnt(0)
	buffer_wbinvl1_vol
.LBB4_778:                              ;   in Loop: Header=BB4_83 Depth=1
	s_or_b64 exec, exec, vcc
	s_andn2_saveexec_b64 s[34:35], s[62:63]
	s_cbranch_execnz .LBB4_819
.LBB4_779:                              ;   in Loop: Header=BB4_83 Depth=1
	s_or_b64 exec, exec, s[34:35]
	v_cmp_ne_u32_e32 vcc, 0, v1
	s_and_saveexec_b64 s[34:35], vcc
	s_cbranch_execnz .LBB4_886
	s_branch .LBB4_889
.LBB4_780:                              ;   in Loop: Header=BB4_83 Depth=1
	s_and_saveexec_b64 s[62:63], s[14:15]
	s_cbranch_execz .LBB4_775
.LBB4_781:                              ;   in Loop: Header=BB4_83 Depth=1
	s_and_saveexec_b64 vcc, s[52:53]
	s_xor_b64 s[64:65], exec, vcc
	s_cbranch_execz .LBB4_815
; %bb.782:                              ;   in Loop: Header=BB4_83 Depth=1
	s_and_saveexec_b64 s[66:67], s[20:21]
	s_cbranch_execz .LBB4_814
; %bb.783:                              ;   in Loop: Header=BB4_83 Depth=1
	s_mov_b64 s[70:71], exec
	v_mbcnt_lo_u32_b32 v1, s70, 0
	v_mbcnt_hi_u32_b32 v1, s71, v1
	v_cmp_eq_u32_e32 vcc, 0, v1
	s_waitcnt vmcnt(0) lgkmcnt(0)
	buffer_wbinvl1_vol
	s_and_saveexec_b64 s[68:69], vcc
	s_cbranch_execz .LBB4_785
; %bb.784:                              ;   in Loop: Header=BB4_83 Depth=1
	s_bcnt1_i32_b64 vcc_lo, s[70:71]
	v_mov_b32_e32 v2, vcc_lo
	v_mov_b32_e32 v3, v36
	ds_add_u64 v0, v[2:3]
	s_trap 2
.LBB4_785:                              ;   in Loop: Header=BB4_83 Depth=1
	s_or_b64 exec, exec, s[68:69]
	s_trap 2
	ds_read_b64 v[2:3], v0
	v_add_co_u32_e32 v28, vcc, v28, v30
	v_addc_co_u32_e32 v29, vcc, 0, v29, vcc
	s_waitcnt lgkmcnt(0)
	v_cmp_lt_u64_e32 vcc, v[2:3], v[28:29]
	s_and_saveexec_b64 s[68:69], vcc
	s_cbranch_execz .LBB4_813
; %bb.786:                              ;   in Loop: Header=BB4_83 Depth=1
	s_mov_b32 s84, 0
	s_mov_b64 s[70:71], 0
                                        ; implicit-def: $sgpr72_sgpr73
                                        ; implicit-def: $sgpr74_sgpr75
	s_branch .LBB4_788
.LBB4_787:                              ;   in Loop: Header=BB4_788 Depth=2
	s_or_b64 exec, exec, s[78:79]
	s_and_b64 vcc, exec, vcc
	s_or_b64 s[70:71], vcc, s[70:71]
	s_andn2_b64 vcc, s[72:73], exec
	s_and_b64 s[72:73], s[74:75], exec
	s_or_b64 s[72:73], vcc, s[72:73]
	s_andn2_b64 exec, exec, s[70:71]
	s_cbranch_execz .LBB4_811
.LBB4_788:                              ;   Parent Loop BB4_83 Depth=1
                                        ; =>  This Inner Loop Header: Depth=2
	s_add_i32 s84, s84, 1
	s_cmpk_lg_i32 s84, 0x2710
	s_cselect_b64 s[76:77], -1, 0
	s_and_b64 vcc, exec, s[76:77]
                                        ; implicit-def: $sgpr78_sgpr79
	s_cbranch_vccnz .LBB4_790
; %bb.789:                              ;   in Loop: Header=BB4_788 Depth=2
	s_trap 2
	ds_read_b64 v[2:3], v0
	s_andn2_b64 s[76:77], s[76:77], exec
	s_mov_b32 s84, 0
	s_mov_b64 s[78:79], -1
	s_waitcnt lgkmcnt(0)
	flat_load_dword v1, v[2:3] glc
	s_waitcnt vmcnt(0) lgkmcnt(0)
	buffer_invl2
	buffer_wbinvl1_vol
	v_cmp_eq_u32_e32 vcc, 0, v1
	s_and_b64 vcc, vcc, exec
	s_or_b64 s[76:77], s[76:77], vcc
.LBB4_790:                              ;   in Loop: Header=BB4_788 Depth=2
	s_andn2_b64 s[74:75], s[74:75], exec
	s_and_b64 s[78:79], s[78:79], exec
	s_mov_b64 vcc, -1
	s_or_b64 s[74:75], s[74:75], s[78:79]
	s_and_saveexec_b64 s[78:79], s[76:77]
	s_cbranch_execz .LBB4_787
; %bb.791:                              ;   in Loop: Header=BB4_788 Depth=2
	s_sleep 1
	s_trap 2
	ds_read_b64 v[2:3], v0
	s_andn2_b64 s[74:75], s[74:75], exec
	s_waitcnt lgkmcnt(0)
	v_cmp_ge_u64_e32 vcc, v[2:3], v[28:29]
	s_orn2_b64 vcc, vcc, exec
	s_branch .LBB4_787
.LBB4_792:                              ;   in Loop: Header=BB4_83 Depth=1
	s_or_b64 exec, exec, s[68:69]
	s_and_saveexec_b64 vcc, s[70:71]
	s_xor_b64 vcc, exec, vcc
	s_cbranch_execz .LBB4_794
; %bb.793:                              ;   in Loop: Header=BB4_83 Depth=1
	ds_write_b32 v0, v56
	s_trap 2
.LBB4_794:                              ;   in Loop: Header=BB4_83 Depth=1
	s_or_b64 exec, exec, s[66:67]
	;;#ASMSTART
	s_wakeup
	;;#ASMEND
.LBB4_795:                              ;   in Loop: Header=BB4_83 Depth=1
	s_or_b64 exec, exec, s[64:65]
.LBB4_796:                              ;   in Loop: Header=BB4_83 Depth=1
	s_andn2_saveexec_b64 vcc, s[62:63]
	s_cbranch_execz .LBB4_798
; %bb.797:                              ;   in Loop: Header=BB4_83 Depth=1
	s_waitcnt vmcnt(0) lgkmcnt(0)
	buffer_wbinvl1_vol
	s_barrier
.LBB4_798:                              ;   in Loop: Header=BB4_83 Depth=1
	s_or_b64 exec, exec, vcc
	s_or_b64 exec, exec, s[58:59]
	s_and_saveexec_b64 vcc, s[28:29]
	s_xor_b64 s[58:59], exec, vcc
	s_cbranch_execnz .LBB4_726
.LBB4_799:                              ;   in Loop: Header=BB4_83 Depth=1
	s_andn2_saveexec_b64 s[36:37], s[58:59]
	s_cbranch_execz .LBB4_837
.LBB4_800:                              ;   in Loop: Header=BB4_83 Depth=1
	s_and_saveexec_b64 vcc, s[52:53]
	s_xor_b64 s[58:59], exec, vcc
	s_cbranch_execz .LBB4_834
; %bb.801:                              ;   in Loop: Header=BB4_83 Depth=1
	s_and_saveexec_b64 s[62:63], s[20:21]
	s_cbranch_execz .LBB4_833
; %bb.802:                              ;   in Loop: Header=BB4_83 Depth=1
	s_mov_b64 s[66:67], exec
	v_mbcnt_lo_u32_b32 v1, s66, 0
	v_mbcnt_hi_u32_b32 v1, s67, v1
	v_cmp_eq_u32_e32 vcc, 0, v1
	;;#ASMSTART
	s_waitcnt lgkmcnt(0) vmcnt(0)
	;;#ASMEND
	s_and_saveexec_b64 s[64:65], vcc
	s_cbranch_execz .LBB4_804
; %bb.803:                              ;   in Loop: Header=BB4_83 Depth=1
	s_bcnt1_i32_b64 vcc_lo, s[66:67]
	v_mov_b32_e32 v2, vcc_lo
	v_mov_b32_e32 v3, v36
	ds_add_u64 v0, v[2:3]
	s_trap 2
.LBB4_804:                              ;   in Loop: Header=BB4_83 Depth=1
	s_or_b64 exec, exec, s[64:65]
	s_trap 2
	ds_read_b64 v[2:3], v0
	v_add_co_u32_e32 v28, vcc, v28, v30
	v_addc_co_u32_e32 v29, vcc, 0, v29, vcc
	s_waitcnt lgkmcnt(0)
	v_cmp_lt_u64_e32 vcc, v[2:3], v[28:29]
	s_and_saveexec_b64 s[64:65], vcc
	s_cbranch_execz .LBB4_832
; %bb.805:                              ;   in Loop: Header=BB4_83 Depth=1
	s_mov_b32 s76, 0
	s_mov_b64 s[66:67], 0
                                        ; implicit-def: $sgpr68_sgpr69
                                        ; implicit-def: $sgpr70_sgpr71
	s_branch .LBB4_807
.LBB4_806:                              ;   in Loop: Header=BB4_807 Depth=2
	s_or_b64 exec, exec, s[74:75]
	s_and_b64 vcc, exec, vcc
	s_or_b64 s[66:67], vcc, s[66:67]
	s_andn2_b64 vcc, s[68:69], exec
	s_and_b64 s[68:69], s[70:71], exec
	s_or_b64 s[68:69], vcc, s[68:69]
	s_andn2_b64 exec, exec, s[66:67]
	s_cbranch_execz .LBB4_830
.LBB4_807:                              ;   Parent Loop BB4_83 Depth=1
                                        ; =>  This Inner Loop Header: Depth=2
	s_add_i32 s76, s76, 1
	s_cmpk_lg_i32 s76, 0x2710
	s_cselect_b64 s[72:73], -1, 0
	s_and_b64 vcc, exec, s[72:73]
                                        ; implicit-def: $sgpr74_sgpr75
	s_cbranch_vccnz .LBB4_809
; %bb.808:                              ;   in Loop: Header=BB4_807 Depth=2
	s_trap 2
	ds_read_b64 v[2:3], v0
	s_andn2_b64 s[72:73], s[72:73], exec
	s_mov_b32 s76, 0
	s_mov_b64 s[74:75], -1
	s_waitcnt vmcnt(0) lgkmcnt(0)
	flat_load_dword v1, v[2:3] glc
	s_waitcnt vmcnt(0) lgkmcnt(0)
	buffer_invl2
	buffer_wbinvl1_vol
	v_cmp_eq_u32_e32 vcc, 0, v1
	s_and_b64 vcc, vcc, exec
	s_or_b64 s[72:73], s[72:73], vcc
.LBB4_809:                              ;   in Loop: Header=BB4_807 Depth=2
	s_andn2_b64 s[70:71], s[70:71], exec
	s_and_b64 s[74:75], s[74:75], exec
	s_mov_b64 vcc, -1
	s_or_b64 s[70:71], s[70:71], s[74:75]
	s_and_saveexec_b64 s[74:75], s[72:73]
	s_cbranch_execz .LBB4_806
; %bb.810:                              ;   in Loop: Header=BB4_807 Depth=2
	s_sleep 1
	s_trap 2
	ds_read_b64 v[2:3], v0
	s_andn2_b64 s[70:71], s[70:71], exec
	s_waitcnt lgkmcnt(0)
	v_cmp_ge_u64_e32 vcc, v[2:3], v[28:29]
	s_orn2_b64 vcc, vcc, exec
	s_branch .LBB4_806
.LBB4_811:                              ;   in Loop: Header=BB4_83 Depth=1
	s_or_b64 exec, exec, s[70:71]
	s_and_saveexec_b64 vcc, s[72:73]
	s_xor_b64 vcc, exec, vcc
	s_cbranch_execz .LBB4_813
; %bb.812:                              ;   in Loop: Header=BB4_83 Depth=1
	ds_write_b32 v0, v56
	s_trap 2
.LBB4_813:                              ;   in Loop: Header=BB4_83 Depth=1
	s_or_b64 exec, exec, s[68:69]
	;;#ASMSTART
	s_wakeup
	;;#ASMEND
.LBB4_814:                              ;   in Loop: Header=BB4_83 Depth=1
	s_or_b64 exec, exec, s[66:67]
.LBB4_815:                              ;   in Loop: Header=BB4_83 Depth=1
	s_andn2_saveexec_b64 vcc, s[64:65]
	s_cbranch_execz .LBB4_817
; %bb.816:                              ;   in Loop: Header=BB4_83 Depth=1
	s_waitcnt vmcnt(0) lgkmcnt(0)
	buffer_wbinvl1_vol
	s_barrier
.LBB4_817:                              ;   in Loop: Header=BB4_83 Depth=1
	s_or_b64 exec, exec, vcc
	s_or_b64 exec, exec, s[62:63]
                                        ; implicit-def: $vgpr1
	s_and_saveexec_b64 vcc, s[28:29]
	s_xor_b64 s[62:63], exec, vcc
	s_cbranch_execnz .LBB4_776
.LBB4_818:                              ;   in Loop: Header=BB4_83 Depth=1
	s_andn2_saveexec_b64 s[34:35], s[62:63]
	s_cbranch_execz .LBB4_779
.LBB4_819:                              ;   in Loop: Header=BB4_83 Depth=1
	s_and_saveexec_b64 vcc, s[52:53]
	s_xor_b64 s[62:63], exec, vcc
	s_cbranch_execz .LBB4_883
; %bb.820:                              ;   in Loop: Header=BB4_83 Depth=1
	s_and_saveexec_b64 s[64:65], s[20:21]
	s_cbranch_execz .LBB4_882
; %bb.821:                              ;   in Loop: Header=BB4_83 Depth=1
	s_mov_b64 s[68:69], exec
	v_mbcnt_lo_u32_b32 v1, s68, 0
	v_mbcnt_hi_u32_b32 v1, s69, v1
	v_cmp_eq_u32_e32 vcc, 0, v1
	;;#ASMSTART
	s_waitcnt lgkmcnt(0) vmcnt(0)
	;;#ASMEND
	s_and_saveexec_b64 s[66:67], vcc
	s_cbranch_execz .LBB4_823
; %bb.822:                              ;   in Loop: Header=BB4_83 Depth=1
	s_bcnt1_i32_b64 vcc_lo, s[68:69]
	v_mov_b32_e32 v2, vcc_lo
	v_mov_b32_e32 v3, v36
	ds_add_u64 v0, v[2:3]
	s_trap 2
.LBB4_823:                              ;   in Loop: Header=BB4_83 Depth=1
	s_or_b64 exec, exec, s[66:67]
	s_trap 2
	ds_read_b64 v[2:3], v0
	v_add_co_u32_e32 v28, vcc, v28, v30
	v_addc_co_u32_e32 v29, vcc, 0, v29, vcc
	s_waitcnt lgkmcnt(0)
	v_cmp_lt_u64_e32 vcc, v[2:3], v[28:29]
	s_and_saveexec_b64 s[66:67], vcc
	s_cbranch_execz .LBB4_881
; %bb.824:                              ;   in Loop: Header=BB4_83 Depth=1
	s_mov_b32 s78, 0
	s_mov_b64 s[68:69], 0
                                        ; implicit-def: $sgpr70_sgpr71
                                        ; implicit-def: $sgpr72_sgpr73
	s_branch .LBB4_826
.LBB4_825:                              ;   in Loop: Header=BB4_826 Depth=2
	s_or_b64 exec, exec, s[76:77]
	s_and_b64 vcc, exec, vcc
	s_or_b64 s[68:69], vcc, s[68:69]
	s_andn2_b64 vcc, s[70:71], exec
	s_and_b64 s[70:71], s[72:73], exec
	s_or_b64 s[70:71], vcc, s[70:71]
	s_andn2_b64 exec, exec, s[68:69]
	s_cbranch_execz .LBB4_879
.LBB4_826:                              ;   Parent Loop BB4_83 Depth=1
                                        ; =>  This Inner Loop Header: Depth=2
	s_add_i32 s78, s78, 1
	s_cmpk_lg_i32 s78, 0x2710
	s_cselect_b64 s[74:75], -1, 0
	s_and_b64 vcc, exec, s[74:75]
                                        ; implicit-def: $sgpr76_sgpr77
	s_cbranch_vccnz .LBB4_828
; %bb.827:                              ;   in Loop: Header=BB4_826 Depth=2
	s_trap 2
	ds_read_b64 v[2:3], v0
	s_andn2_b64 s[74:75], s[74:75], exec
	s_mov_b32 s78, 0
	s_mov_b64 s[76:77], -1
	s_waitcnt vmcnt(0) lgkmcnt(0)
	flat_load_dword v1, v[2:3] glc
	s_waitcnt vmcnt(0) lgkmcnt(0)
	buffer_invl2
	buffer_wbinvl1_vol
	v_cmp_eq_u32_e32 vcc, 0, v1
	s_and_b64 vcc, vcc, exec
	s_or_b64 s[74:75], s[74:75], vcc
.LBB4_828:                              ;   in Loop: Header=BB4_826 Depth=2
	s_andn2_b64 s[72:73], s[72:73], exec
	s_and_b64 s[76:77], s[76:77], exec
	s_mov_b64 vcc, -1
	s_or_b64 s[72:73], s[72:73], s[76:77]
	s_and_saveexec_b64 s[76:77], s[74:75]
	s_cbranch_execz .LBB4_825
; %bb.829:                              ;   in Loop: Header=BB4_826 Depth=2
	s_sleep 1
	s_trap 2
	ds_read_b64 v[2:3], v0
	s_andn2_b64 s[72:73], s[72:73], exec
	s_waitcnt lgkmcnt(0)
	v_cmp_ge_u64_e32 vcc, v[2:3], v[28:29]
	s_orn2_b64 vcc, vcc, exec
	s_branch .LBB4_825
.LBB4_830:                              ;   in Loop: Header=BB4_83 Depth=1
	s_or_b64 exec, exec, s[66:67]
	s_and_saveexec_b64 vcc, s[68:69]
	s_xor_b64 vcc, exec, vcc
	s_cbranch_execz .LBB4_832
; %bb.831:                              ;   in Loop: Header=BB4_83 Depth=1
	ds_write_b32 v0, v56
	s_trap 2
.LBB4_832:                              ;   in Loop: Header=BB4_83 Depth=1
	s_or_b64 exec, exec, s[64:65]
	;;#ASMSTART
	s_wakeup
	;;#ASMEND
.LBB4_833:                              ;   in Loop: Header=BB4_83 Depth=1
	s_or_b64 exec, exec, s[62:63]
.LBB4_834:                              ;   in Loop: Header=BB4_83 Depth=1
	s_andn2_saveexec_b64 vcc, s[58:59]
	s_cbranch_execz .LBB4_836
; %bb.835:                              ;   in Loop: Header=BB4_83 Depth=1
	;;#ASMSTART
	s_waitcnt lgkmcnt(0) vmcnt(0)
	;;#ASMEND
	s_barrier
.LBB4_836:                              ;   in Loop: Header=BB4_83 Depth=1
	s_or_b64 exec, exec, vcc
.LBB4_837:                              ;   in Loop: Header=BB4_83 Depth=1
	s_or_b64 exec, exec, s[36:37]
	v_and_b32_e32 v1, 32, v46
	v_cmp_ne_u32_e32 vcc, 0, v1
	s_and_saveexec_b64 s[36:37], vcc
	s_cbranch_execz .LBB4_839
; %bb.838:                              ;   in Loop: Header=BB4_83 Depth=1
	v_add_co_u32_e32 v8, vcc, 1, v8
	v_addc_co_u32_e32 v9, vcc, 0, v9, vcc
	flat_store_dwordx2 v[22:23], v[8:9]
.LBB4_839:                              ;   in Loop: Header=BB4_83 Depth=1
	s_or_b64 exec, exec, s[36:37]
	v_mov_b32_e32 v1, v42
.LBB4_840:                              ;   in Loop: Header=BB4_83 Depth=1
	s_or_b64 exec, exec, s[42:43]
	s_mov_b64 vcc, s[38:39]
	s_and_saveexec_b64 s[42:43], s[30:31]
	s_cbranch_execz .LBB4_989
; %bb.841:                              ;   in Loop: Header=BB4_83 Depth=1
	v_and_b32_e32 v2, 4, v46
	v_cmp_ne_u32_e32 vcc, 0, v2
	s_mov_b64 s[58:59], -1
	s_and_saveexec_b64 s[36:37], vcc
	s_cbranch_execz .LBB4_851
; %bb.842:                              ;   in Loop: Header=BB4_83 Depth=1
	v_add_co_u32_e32 v2, vcc, 1, v8
	v_addc_co_u32_e32 v3, vcc, 0, v9, vcc
	v_cmp_lt_u64_e32 vcc, v[34:35], v[2:3]
	v_mov_b32_e32 v10, 1
	s_and_saveexec_b64 s[58:59], vcc
	s_cbranch_execz .LBB4_866
; %bb.843:                              ;   in Loop: Header=BB4_83 Depth=1
	s_mov_b64 s[62:63], 0
	v_mov_b32_e32 v10, 0
                                        ; implicit-def: $sgpr64_sgpr65
	s_branch .LBB4_847
.LBB4_844:                              ;   in Loop: Header=BB4_847 Depth=2
	s_or_b64 exec, exec, s[72:73]
	v_mov_b32_e32 v12, 0
	s_orn2_b64 s[70:71], s[70:71], exec
.LBB4_845:                              ;   in Loop: Header=BB4_847 Depth=2
	s_or_b64 exec, exec, s[68:69]
	s_andn2_b64 vcc, s[64:65], exec
	s_and_b64 s[64:65], s[70:71], exec
	s_or_b64 s[64:65], vcc, s[64:65]
	v_mov_b32_e32 v10, v12
.LBB4_846:                              ;   in Loop: Header=BB4_847 Depth=2
	s_or_b64 exec, exec, s[66:67]
	s_waitcnt vmcnt(0) lgkmcnt(0)
	v_cmp_ge_u64_e32 vcc, v[34:35], v[2:3]
	s_xor_b64 s[66:67], s[64:65], -1
	s_or_b64 vcc, s[66:67], vcc
	s_and_b64 vcc, exec, vcc
	s_or_b64 s[62:63], vcc, s[62:63]
	s_andn2_b64 exec, exec, s[62:63]
	s_cbranch_execz .LBB4_865
.LBB4_847:                              ;   Parent Loop BB4_83 Depth=1
                                        ; =>  This Inner Loop Header: Depth=2
	s_sleep 1
	flat_load_dwordx2 v[34:35], v[22:23] glc
	v_and_b32_e32 v12, 64, v46
	v_cmp_eq_u32_e32 vcc, 0, v12
	s_andn2_b64 s[64:65], s[64:65], exec
	s_and_saveexec_b64 s[66:67], vcc
	s_cbranch_execz .LBB4_846
; %bb.848:                              ;   in Loop: Header=BB4_847 Depth=2
	v_add_u32_e32 v12, 1, v10
	v_cmp_lt_i32_e32 vcc, s81, v10
	s_mov_b64 s[70:71], -1
	s_and_saveexec_b64 s[68:69], vcc
	s_cbranch_execz .LBB4_845
; %bb.849:                              ;   in Loop: Header=BB4_847 Depth=2
	s_trap 2
	ds_read_b64 v[12:13], v0
	s_waitcnt vmcnt(0) lgkmcnt(0)
	flat_load_dword v10, v[12:13] glc
	s_waitcnt vmcnt(0) lgkmcnt(0)
	buffer_invl2
	buffer_wbinvl1_vol
	v_cmp_ne_u32_e32 vcc, 0, v10
	s_and_saveexec_b64 s[72:73], vcc
	s_cbranch_execz .LBB4_844
; %bb.850:                              ;   in Loop: Header=BB4_847 Depth=2
	v_or_b32_e32 v46, 64, v46
	s_xor_b64 s[70:71], exec, -1
	ds_write_b32 v0, v10
	s_trap 2
	s_branch .LBB4_844
.LBB4_851:                              ;   in Loop: Header=BB4_83 Depth=1
	s_or_b64 exec, exec, s[36:37]
	s_xor_b64 vcc, s[58:59], -1
	s_and_saveexec_b64 s[58:59], vcc
	s_cbranch_execz .LBB4_867
.LBB4_852:                              ;   in Loop: Header=BB4_83 Depth=1
	v_and_b32_e32 v2, 0x100, v46
	v_cmp_ne_u32_e32 vcc, 0, v2
	v_and_b32_e32 v10, 7, v8
	s_mov_b64 s[36:37], -1
                                        ; implicit-def: $vgpr2_vgpr3
	s_and_saveexec_b64 s[62:63], vcc
	s_cbranch_execz .LBB4_856
; %bb.853:                              ;   in Loop: Header=BB4_83 Depth=1
	v_mad_u64_u32 v[12:13], vcc, v10, 24, v[6:7]
	flat_load_dword v2, v[12:13]
	s_waitcnt vmcnt(0) lgkmcnt(0)
	v_cmp_ne_u32_e32 vcc, 1, v2
	v_cmp_eq_u32_e64 s[36:37], 1, v2
                                        ; implicit-def: $vgpr2_vgpr3
	s_and_saveexec_b64 s[64:65], s[36:37]
	s_cbranch_execz .LBB4_855
; %bb.854:                              ;   in Loop: Header=BB4_83 Depth=1
	flat_load_dword v2, v[12:13] offset:4 glc
	s_waitcnt vmcnt(0) lgkmcnt(0)
	v_ashrrev_i32_e32 v3, 31, v2
.LBB4_855:                              ;   in Loop: Header=BB4_83 Depth=1
	s_or_b64 exec, exec, s[64:65]
	s_orn2_b64 s[36:37], vcc, exec
.LBB4_856:                              ;   in Loop: Header=BB4_83 Depth=1
	s_or_b64 exec, exec, s[62:63]
	s_and_saveexec_b64 vcc, s[36:37]
; %bb.857:                              ;   in Loop: Header=BB4_83 Depth=1
	v_mad_i64_i32 v[2:3], s[36:37], v10, v24, 0
; %bb.858:                              ;   in Loop: Header=BB4_83 Depth=1
	s_or_b64 exec, exec, vcc
	v_add_co_u32_e32 v2, vcc, v26, v2
	v_addc_co_u32_e32 v3, vcc, v27, v3, vcc
	ds_write_b64 v0, v[2:3] offset:720
	v_and_b32_e32 v2, 0x2000, v46
	v_cmp_ne_u32_e32 vcc, 0, v2
	s_and_saveexec_b64 s[36:37], vcc
	s_cbranch_execz .LBB4_860
; %bb.859:                              ;   in Loop: Header=BB4_83 Depth=1
	ds_read_b64 v[2:3], v0 offset:584
	s_waitcnt lgkmcnt(0)
	v_add_co_u32_e32 v2, vcc, 1, v2
	v_addc_co_u32_e32 v3, vcc, 0, v3, vcc
	ds_write_b64 v0, v[2:3] offset:584
.LBB4_860:                              ;   in Loop: Header=BB4_83 Depth=1
	s_or_b64 exec, exec, s[36:37]
	v_add_co_u32_e32 v8, vcc, 1, v8
	v_addc_co_u32_e32 v9, vcc, 0, v9, vcc
	s_or_b64 exec, exec, s[58:59]
	s_and_saveexec_b64 s[36:37], s[14:15]
	s_cbranch_execnz .LBB4_868
.LBB4_861:                              ;   in Loop: Header=BB4_83 Depth=1
	s_or_b64 exec, exec, s[36:37]
	s_and_saveexec_b64 vcc, s[28:29]
	s_xor_b64 s[36:37], exec, vcc
	s_cbranch_execz .LBB4_944
.LBB4_862:                              ;   in Loop: Header=BB4_83 Depth=1
	s_trap 2
	ds_read_b32 v2, v0
	v_sub_u32_e32 v1, v19, v1
	v_min_i32_e32 v1, v42, v1
	v_cmp_lt_i32_e32 vcc, 0, v1
	v_and_b32_e32 v1, 16, v46
	s_waitcnt lgkmcnt(0)
	v_readfirstlane_b32 s58, v2
	s_cmp_eq_u32 s58, 0
	s_cselect_b64 s[58:59], -1, 0
	s_and_b64 s[58:59], vcc, s[58:59]
	v_cmp_ne_u32_e32 vcc, 0, v1
	s_and_b64 s[58:59], vcc, s[58:59]
	s_and_saveexec_b64 vcc, s[58:59]
	s_cbranch_execz .LBB4_864
; %bb.863:                              ;   in Loop: Header=BB4_83 Depth=1
	s_waitcnt vmcnt(0)
	buffer_wbinvl1_vol
.LBB4_864:                              ;   in Loop: Header=BB4_83 Depth=1
	s_or_b64 exec, exec, vcc
	s_andn2_saveexec_b64 s[36:37], s[36:37]
	s_cbranch_execz .LBB4_988
	s_branch .LBB4_945
.LBB4_865:                              ;   in Loop: Header=BB4_83 Depth=1
	s_or_b64 exec, exec, s[62:63]
	v_and_b32_e32 v10, 4, v46
.LBB4_866:                              ;   in Loop: Header=BB4_83 Depth=1
	s_or_b64 exec, exec, s[58:59]
	v_cmp_eq_u32_e32 vcc, 0, v10
	s_orn2_b64 s[58:59], vcc, exec
	;;#ASMSTART
	s_wakeup
	;;#ASMEND
	s_or_b64 exec, exec, s[36:37]
	s_xor_b64 vcc, s[58:59], -1
	s_and_saveexec_b64 s[58:59], vcc
	s_cbranch_execnz .LBB4_852
.LBB4_867:                              ;   in Loop: Header=BB4_83 Depth=1
	s_or_b64 exec, exec, s[58:59]
	s_and_saveexec_b64 s[36:37], s[14:15]
	s_cbranch_execz .LBB4_861
.LBB4_868:                              ;   in Loop: Header=BB4_83 Depth=1
	s_and_saveexec_b64 vcc, s[52:53]
	s_xor_b64 s[58:59], exec, vcc
	s_cbranch_execz .LBB4_941
; %bb.869:                              ;   in Loop: Header=BB4_83 Depth=1
	s_and_saveexec_b64 s[62:63], s[20:21]
	s_cbranch_execz .LBB4_940
; %bb.870:                              ;   in Loop: Header=BB4_83 Depth=1
	s_mov_b64 s[66:67], exec
	v_mbcnt_lo_u32_b32 v2, s66, 0
	v_mbcnt_hi_u32_b32 v2, s67, v2
	v_cmp_eq_u32_e32 vcc, 0, v2
	s_waitcnt vmcnt(0) lgkmcnt(0)
	buffer_wbinvl1_vol
	s_and_saveexec_b64 s[64:65], vcc
	s_cbranch_execz .LBB4_872
; %bb.871:                              ;   in Loop: Header=BB4_83 Depth=1
	s_bcnt1_i32_b64 vcc_lo, s[66:67]
	v_mov_b32_e32 v2, vcc_lo
	v_mov_b32_e32 v3, v36
	ds_add_u64 v0, v[2:3]
	s_trap 2
.LBB4_872:                              ;   in Loop: Header=BB4_83 Depth=1
	s_or_b64 exec, exec, s[64:65]
	s_trap 2
	ds_read_b64 v[2:3], v0
	v_add_co_u32_e32 v28, vcc, v28, v30
	v_addc_co_u32_e32 v29, vcc, 0, v29, vcc
	s_waitcnt lgkmcnt(0)
	v_cmp_lt_u64_e32 vcc, v[2:3], v[28:29]
	s_and_saveexec_b64 s[64:65], vcc
	s_cbranch_execz .LBB4_939
; %bb.873:                              ;   in Loop: Header=BB4_83 Depth=1
	s_mov_b32 s76, 0
	s_mov_b64 s[66:67], 0
                                        ; implicit-def: $sgpr68_sgpr69
                                        ; implicit-def: $sgpr70_sgpr71
	s_branch .LBB4_875
.LBB4_874:                              ;   in Loop: Header=BB4_875 Depth=2
	s_or_b64 exec, exec, s[74:75]
	s_and_b64 vcc, exec, vcc
	s_or_b64 s[66:67], vcc, s[66:67]
	s_andn2_b64 vcc, s[68:69], exec
	s_and_b64 s[68:69], s[70:71], exec
	s_or_b64 s[68:69], vcc, s[68:69]
	s_andn2_b64 exec, exec, s[66:67]
	s_cbranch_execz .LBB4_937
.LBB4_875:                              ;   Parent Loop BB4_83 Depth=1
                                        ; =>  This Inner Loop Header: Depth=2
	s_add_i32 s76, s76, 1
	s_cmpk_lg_i32 s76, 0x2710
	s_cselect_b64 s[72:73], -1, 0
	s_and_b64 vcc, exec, s[72:73]
                                        ; implicit-def: $sgpr74_sgpr75
	s_cbranch_vccnz .LBB4_877
; %bb.876:                              ;   in Loop: Header=BB4_875 Depth=2
	s_trap 2
	ds_read_b64 v[2:3], v0
	s_andn2_b64 s[72:73], s[72:73], exec
	s_mov_b32 s76, 0
	s_mov_b64 s[74:75], -1
	s_waitcnt lgkmcnt(0)
	flat_load_dword v2, v[2:3] glc
	s_waitcnt vmcnt(0) lgkmcnt(0)
	buffer_invl2
	buffer_wbinvl1_vol
	v_cmp_eq_u32_e32 vcc, 0, v2
	s_and_b64 vcc, vcc, exec
	s_or_b64 s[72:73], s[72:73], vcc
.LBB4_877:                              ;   in Loop: Header=BB4_875 Depth=2
	s_andn2_b64 s[70:71], s[70:71], exec
	s_and_b64 s[74:75], s[74:75], exec
	s_mov_b64 vcc, -1
	s_or_b64 s[70:71], s[70:71], s[74:75]
	s_and_saveexec_b64 s[74:75], s[72:73]
	s_cbranch_execz .LBB4_874
; %bb.878:                              ;   in Loop: Header=BB4_875 Depth=2
	s_sleep 1
	s_trap 2
	ds_read_b64 v[2:3], v0
	s_andn2_b64 s[70:71], s[70:71], exec
	s_waitcnt lgkmcnt(0)
	v_cmp_ge_u64_e32 vcc, v[2:3], v[28:29]
	s_orn2_b64 vcc, vcc, exec
	s_branch .LBB4_874
.LBB4_879:                              ;   in Loop: Header=BB4_83 Depth=1
	s_or_b64 exec, exec, s[68:69]
	s_and_saveexec_b64 vcc, s[70:71]
	s_xor_b64 vcc, exec, vcc
	s_cbranch_execz .LBB4_881
; %bb.880:                              ;   in Loop: Header=BB4_83 Depth=1
	ds_write_b32 v0, v56
	s_trap 2
.LBB4_881:                              ;   in Loop: Header=BB4_83 Depth=1
	s_or_b64 exec, exec, s[66:67]
	;;#ASMSTART
	s_wakeup
	;;#ASMEND
.LBB4_882:                              ;   in Loop: Header=BB4_83 Depth=1
	s_or_b64 exec, exec, s[64:65]
.LBB4_883:                              ;   in Loop: Header=BB4_83 Depth=1
	s_andn2_saveexec_b64 vcc, s[62:63]
	s_cbranch_execz .LBB4_885
; %bb.884:                              ;   in Loop: Header=BB4_83 Depth=1
	;;#ASMSTART
	s_waitcnt lgkmcnt(0) vmcnt(0)
	;;#ASMEND
	s_barrier
.LBB4_885:                              ;   in Loop: Header=BB4_83 Depth=1
	s_or_b64 exec, exec, vcc
	v_and_b32_e32 v1, 16, v46
	s_or_b64 exec, exec, s[34:35]
	v_cmp_ne_u32_e32 vcc, 0, v1
	s_and_saveexec_b64 s[34:35], vcc
	s_cbranch_execz .LBB4_889
.LBB4_886:                              ;   in Loop: Header=BB4_83 Depth=1
	s_and_saveexec_b64 vcc, s[18:19]
	s_cbranch_execz .LBB4_888
; %bb.887:                              ;   in Loop: Header=BB4_83 Depth=1
	flat_store_dword v[52:53], v56
.LBB4_888:                              ;   in Loop: Header=BB4_83 Depth=1
	s_or_b64 exec, exec, vcc
	v_add_co_u32_e32 v8, vcc, 1, v8
	v_addc_co_u32_e32 v9, vcc, 0, v9, vcc
	flat_store_dwordx2 v[22:23], v[8:9]
.LBB4_889:                              ;   in Loop: Header=BB4_83 Depth=1
	s_or_b64 exec, exec, s[34:35]
	v_mov_b32_e32 v1, v42
.LBB4_890:                              ;   in Loop: Header=BB4_83 Depth=1
	s_or_b64 exec, exec, s[42:43]
	s_mov_b64 vcc, s[38:39]
	s_mov_b64 s[42:43], s[36:37]
	s_and_saveexec_b64 s[34:35], s[30:31]
	s_cbranch_execz .LBB4_977
; %bb.891:                              ;   in Loop: Header=BB4_83 Depth=1
	v_and_b32_e32 v2, 8, v46
	v_cmp_ne_u32_e32 vcc, 0, v2
	s_mov_b64 s[42:43], -1
	s_and_saveexec_b64 s[30:31], vcc
	s_cbranch_execz .LBB4_903
; %bb.892:                              ;   in Loop: Header=BB4_83 Depth=1
	v_add_co_u32_e32 v12, vcc, 8, v34
	v_addc_co_u32_e32 v13, vcc, 0, v35, vcc
	v_add_co_u32_e32 v2, vcc, 1, v8
	v_addc_co_u32_e32 v3, vcc, 0, v9, vcc
	v_cmp_lt_u64_e32 vcc, v[12:13], v[2:3]
	v_mov_b32_e32 v10, 1
	s_and_saveexec_b64 s[42:43], vcc
	s_cbranch_execz .LBB4_902
; %bb.893:                              ;   in Loop: Header=BB4_83 Depth=1
	s_mov_b64 s[62:63], 0
	v_mov_b32_e32 v10, 0
                                        ; implicit-def: $sgpr64_sgpr65
	s_branch .LBB4_897
.LBB4_894:                              ;   in Loop: Header=BB4_897 Depth=2
	s_or_b64 exec, exec, s[72:73]
	v_mov_b32_e32 v12, 0
	s_orn2_b64 s[70:71], s[70:71], exec
.LBB4_895:                              ;   in Loop: Header=BB4_897 Depth=2
	s_or_b64 exec, exec, s[68:69]
	s_andn2_b64 vcc, s[64:65], exec
	s_and_b64 s[64:65], s[70:71], exec
	s_or_b64 s[64:65], vcc, s[64:65]
	v_mov_b32_e32 v10, v12
.LBB4_896:                              ;   in Loop: Header=BB4_897 Depth=2
	s_or_b64 exec, exec, s[66:67]
	s_waitcnt vmcnt(0) lgkmcnt(0)
	v_add_co_u32_e32 v12, vcc, 8, v34
	v_addc_co_u32_e32 v13, vcc, 0, v35, vcc
	v_cmp_ge_u64_e32 vcc, v[12:13], v[2:3]
	s_xor_b64 s[66:67], s[64:65], -1
	s_or_b64 vcc, s[66:67], vcc
	s_and_b64 vcc, exec, vcc
	s_or_b64 s[62:63], vcc, s[62:63]
	s_andn2_b64 exec, exec, s[62:63]
	s_cbranch_execz .LBB4_901
.LBB4_897:                              ;   Parent Loop BB4_83 Depth=1
                                        ; =>  This Inner Loop Header: Depth=2
	s_sleep 1
	flat_load_dwordx2 v[34:35], v[22:23] glc
	v_and_b32_e32 v12, 64, v46
	v_cmp_eq_u32_e32 vcc, 0, v12
	s_andn2_b64 s[64:65], s[64:65], exec
	s_and_saveexec_b64 s[66:67], vcc
	s_cbranch_execz .LBB4_896
; %bb.898:                              ;   in Loop: Header=BB4_897 Depth=2
	v_add_u32_e32 v12, 1, v10
	v_cmp_lt_i32_e32 vcc, s81, v10
	s_mov_b64 s[70:71], -1
	s_and_saveexec_b64 s[68:69], vcc
	s_cbranch_execz .LBB4_895
; %bb.899:                              ;   in Loop: Header=BB4_897 Depth=2
	s_trap 2
	ds_read_b64 v[12:13], v0
	s_waitcnt vmcnt(0) lgkmcnt(0)
	flat_load_dword v10, v[12:13] glc
	s_waitcnt vmcnt(0) lgkmcnt(0)
	buffer_invl2
	buffer_wbinvl1_vol
	v_cmp_ne_u32_e32 vcc, 0, v10
	s_and_saveexec_b64 s[72:73], vcc
	s_cbranch_execz .LBB4_894
; %bb.900:                              ;   in Loop: Header=BB4_897 Depth=2
	v_or_b32_e32 v46, 64, v46
	s_xor_b64 s[70:71], exec, -1
	ds_write_b32 v0, v10
	s_trap 2
	s_branch .LBB4_894
.LBB4_901:                              ;   in Loop: Header=BB4_83 Depth=1
	s_or_b64 exec, exec, s[62:63]
	v_and_b32_e32 v10, 8, v46
.LBB4_902:                              ;   in Loop: Header=BB4_83 Depth=1
	s_or_b64 exec, exec, s[42:43]
	v_cmp_eq_u32_e32 vcc, 0, v10
	s_orn2_b64 s[42:43], vcc, exec
	;;#ASMSTART
	s_wakeup
	;;#ASMEND
.LBB4_903:                              ;   in Loop: Header=BB4_83 Depth=1
	s_or_b64 exec, exec, s[30:31]
	v_sub_u32_e32 v1, v19, v1
	s_xor_b64 vcc, s[42:43], -1
	v_min_i32_e32 v2, v42, v1
	s_and_saveexec_b64 s[42:43], vcc
	s_cbranch_execz .LBB4_925
; %bb.904:                              ;   in Loop: Header=BB4_83 Depth=1
	v_and_b32_e32 v1, 0x100, v46
	v_cmp_ne_u32_e32 vcc, 0, v1
	v_and_b32_e32 v1, 7, v8
	s_mov_b64 s[30:31], -1
                                        ; implicit-def: $vgpr12_vgpr13
	s_and_saveexec_b64 s[62:63], vcc
	s_cbranch_execz .LBB4_908
; %bb.905:                              ;   in Loop: Header=BB4_83 Depth=1
	v_mad_u64_u32 v[14:15], vcc, v1, 24, v[6:7]
	flat_load_dword v10, v[14:15]
	v_ashrrev_i32_e32 v3, 31, v2
	flat_store_dwordx2 v[14:15], v[2:3] offset:8
                                        ; implicit-def: $vgpr12_vgpr13
	s_waitcnt vmcnt(0) lgkmcnt(0)
	v_cmp_ne_u32_e32 vcc, 1, v10
	v_cmp_eq_u32_e64 s[30:31], 1, v10
	s_and_saveexec_b64 s[64:65], s[30:31]
	s_cbranch_execz .LBB4_907
; %bb.906:                              ;   in Loop: Header=BB4_83 Depth=1
	flat_load_dword v12, v[14:15] offset:4 glc
	s_waitcnt vmcnt(0) lgkmcnt(0)
	v_ashrrev_i32_e32 v13, 31, v12
.LBB4_907:                              ;   in Loop: Header=BB4_83 Depth=1
	s_or_b64 exec, exec, s[64:65]
	s_orn2_b64 s[30:31], vcc, exec
.LBB4_908:                              ;   in Loop: Header=BB4_83 Depth=1
	s_or_b64 exec, exec, s[62:63]
	s_and_saveexec_b64 vcc, s[30:31]
; %bb.909:                              ;   in Loop: Header=BB4_83 Depth=1
	v_mad_i64_i32 v[12:13], s[30:31], v1, v24, 0
; %bb.910:                              ;   in Loop: Header=BB4_83 Depth=1
	s_or_b64 exec, exec, vcc
	v_add_co_u32_e32 v12, vcc, v26, v12
	v_addc_co_u32_e32 v13, vcc, v27, v13, vcc
	v_and_b32_e32 v1, 0x2000, v46
	v_cmp_ne_u32_e32 vcc, 0, v1
	ds_write_b64 v0, v[12:13] offset:784
	s_and_saveexec_b64 s[30:31], vcc
	s_cbranch_execz .LBB4_912
; %bb.911:                              ;   in Loop: Header=BB4_83 Depth=1
	ds_read_b64 v[12:13], v0 offset:584
	s_waitcnt lgkmcnt(0)
	v_add_co_u32_e32 v12, vcc, 1, v12
	v_addc_co_u32_e32 v13, vcc, 0, v13, vcc
	ds_write_b64 v0, v[12:13] offset:584
.LBB4_912:                              ;   in Loop: Header=BB4_83 Depth=1
	s_or_b64 exec, exec, s[30:31]
	v_add_co_u32_e32 v8, vcc, 1, v8
	v_addc_co_u32_e32 v9, vcc, 0, v9, vcc
	s_or_b64 exec, exec, s[42:43]
	s_and_saveexec_b64 s[30:31], s[14:15]
	s_cbranch_execnz .LBB4_926
.LBB4_913:                              ;   in Loop: Header=BB4_83 Depth=1
	s_or_b64 exec, exec, s[30:31]
                                        ; implicit-def: $vgpr1
	s_and_saveexec_b64 vcc, s[56:57]
	s_xor_b64 s[30:31], exec, vcc
	s_cbranch_execz .LBB4_970
.LBB4_914:                              ;   in Loop: Header=BB4_83 Depth=1
	s_and_saveexec_b64 vcc, s[52:53]
	s_xor_b64 s[42:43], exec, vcc
	s_cbranch_execz .LBB4_960
; %bb.915:                              ;   in Loop: Header=BB4_83 Depth=1
	s_and_saveexec_b64 s[62:63], s[20:21]
	s_cbranch_execz .LBB4_959
; %bb.916:                              ;   in Loop: Header=BB4_83 Depth=1
	s_mov_b64 s[66:67], exec
	v_mbcnt_lo_u32_b32 v1, s66, 0
	v_mbcnt_hi_u32_b32 v1, s67, v1
	v_cmp_eq_u32_e32 vcc, 0, v1
	;;#ASMSTART
	s_waitcnt lgkmcnt(0) vmcnt(0)
	;;#ASMEND
	s_and_saveexec_b64 s[64:65], vcc
	s_cbranch_execz .LBB4_918
; %bb.917:                              ;   in Loop: Header=BB4_83 Depth=1
	s_bcnt1_i32_b64 vcc_lo, s[66:67]
	v_mov_b32_e32 v2, vcc_lo
	v_mov_b32_e32 v3, v36
	ds_add_u64 v0, v[2:3]
	s_trap 2
.LBB4_918:                              ;   in Loop: Header=BB4_83 Depth=1
	s_or_b64 exec, exec, s[64:65]
	s_trap 2
	ds_read_b64 v[2:3], v0
	v_add_co_u32_e32 v28, vcc, v28, v30
	v_addc_co_u32_e32 v29, vcc, 0, v29, vcc
	s_waitcnt lgkmcnt(0)
	v_cmp_lt_u64_e32 vcc, v[2:3], v[28:29]
	s_and_saveexec_b64 s[64:65], vcc
	s_cbranch_execz .LBB4_958
; %bb.919:                              ;   in Loop: Header=BB4_83 Depth=1
	s_mov_b32 s76, 0
	s_mov_b64 s[66:67], 0
                                        ; implicit-def: $sgpr68_sgpr69
                                        ; implicit-def: $sgpr70_sgpr71
	s_branch .LBB4_921
.LBB4_920:                              ;   in Loop: Header=BB4_921 Depth=2
	s_or_b64 exec, exec, s[74:75]
	s_and_b64 vcc, exec, vcc
	s_or_b64 s[66:67], vcc, s[66:67]
	s_andn2_b64 vcc, s[68:69], exec
	s_and_b64 s[68:69], s[70:71], exec
	s_or_b64 s[68:69], vcc, s[68:69]
	s_andn2_b64 exec, exec, s[66:67]
	s_cbranch_execz .LBB4_956
.LBB4_921:                              ;   Parent Loop BB4_83 Depth=1
                                        ; =>  This Inner Loop Header: Depth=2
	s_add_i32 s76, s76, 1
	s_cmpk_lg_i32 s76, 0x2710
	s_cselect_b64 s[72:73], -1, 0
	s_and_b64 vcc, exec, s[72:73]
                                        ; implicit-def: $sgpr74_sgpr75
	s_cbranch_vccnz .LBB4_923
; %bb.922:                              ;   in Loop: Header=BB4_921 Depth=2
	s_trap 2
	ds_read_b64 v[2:3], v0
	s_andn2_b64 s[72:73], s[72:73], exec
	s_mov_b32 s76, 0
	s_mov_b64 s[74:75], -1
	s_waitcnt vmcnt(0) lgkmcnt(0)
	flat_load_dword v1, v[2:3] glc
	s_waitcnt vmcnt(0) lgkmcnt(0)
	buffer_invl2
	buffer_wbinvl1_vol
	v_cmp_eq_u32_e32 vcc, 0, v1
	s_and_b64 vcc, vcc, exec
	s_or_b64 s[72:73], s[72:73], vcc
.LBB4_923:                              ;   in Loop: Header=BB4_921 Depth=2
	s_andn2_b64 s[70:71], s[70:71], exec
	s_and_b64 s[74:75], s[74:75], exec
	s_mov_b64 vcc, -1
	s_or_b64 s[70:71], s[70:71], s[74:75]
	s_and_saveexec_b64 s[74:75], s[72:73]
	s_cbranch_execz .LBB4_920
; %bb.924:                              ;   in Loop: Header=BB4_921 Depth=2
	s_sleep 1
	s_trap 2
	ds_read_b64 v[2:3], v0
	s_andn2_b64 s[70:71], s[70:71], exec
	s_waitcnt lgkmcnt(0)
	v_cmp_ge_u64_e32 vcc, v[2:3], v[28:29]
	s_orn2_b64 vcc, vcc, exec
	s_branch .LBB4_920
.LBB4_925:                              ;   in Loop: Header=BB4_83 Depth=1
	s_or_b64 exec, exec, s[42:43]
	s_and_saveexec_b64 s[30:31], s[14:15]
	s_cbranch_execz .LBB4_913
.LBB4_926:                              ;   in Loop: Header=BB4_83 Depth=1
	s_and_saveexec_b64 vcc, s[52:53]
	s_xor_b64 s[42:43], exec, vcc
	s_cbranch_execz .LBB4_967
; %bb.927:                              ;   in Loop: Header=BB4_83 Depth=1
	s_and_saveexec_b64 s[62:63], s[20:21]
	s_cbranch_execz .LBB4_966
; %bb.928:                              ;   in Loop: Header=BB4_83 Depth=1
	s_mov_b64 s[66:67], exec
	v_mbcnt_lo_u32_b32 v1, s66, 0
	v_mbcnt_hi_u32_b32 v1, s67, v1
	v_cmp_eq_u32_e32 vcc, 0, v1
	s_waitcnt vmcnt(0) lgkmcnt(0)
	buffer_wbinvl1_vol
	s_and_saveexec_b64 s[64:65], vcc
	s_cbranch_execz .LBB4_930
; %bb.929:                              ;   in Loop: Header=BB4_83 Depth=1
	s_bcnt1_i32_b64 vcc_lo, s[66:67]
	v_mov_b32_e32 v12, vcc_lo
	v_mov_b32_e32 v13, v36
	ds_add_u64 v0, v[12:13]
	s_trap 2
.LBB4_930:                              ;   in Loop: Header=BB4_83 Depth=1
	s_or_b64 exec, exec, s[64:65]
	s_trap 2
	ds_read_b64 v[12:13], v0
	v_add_co_u32_e32 v28, vcc, v28, v30
	v_addc_co_u32_e32 v29, vcc, 0, v29, vcc
	s_waitcnt lgkmcnt(0)
	v_cmp_lt_u64_e32 vcc, v[12:13], v[28:29]
	s_and_saveexec_b64 s[64:65], vcc
	s_cbranch_execz .LBB4_965
; %bb.931:                              ;   in Loop: Header=BB4_83 Depth=1
	s_mov_b32 s76, 0
	s_mov_b64 s[66:67], 0
                                        ; implicit-def: $sgpr68_sgpr69
                                        ; implicit-def: $sgpr70_sgpr71
	s_branch .LBB4_933
.LBB4_932:                              ;   in Loop: Header=BB4_933 Depth=2
	s_or_b64 exec, exec, s[74:75]
	s_and_b64 vcc, exec, vcc
	s_or_b64 s[66:67], vcc, s[66:67]
	s_andn2_b64 vcc, s[68:69], exec
	s_and_b64 s[68:69], s[70:71], exec
	s_or_b64 s[68:69], vcc, s[68:69]
	s_andn2_b64 exec, exec, s[66:67]
	s_cbranch_execz .LBB4_963
.LBB4_933:                              ;   Parent Loop BB4_83 Depth=1
                                        ; =>  This Inner Loop Header: Depth=2
	s_add_i32 s76, s76, 1
	s_cmpk_lg_i32 s76, 0x2710
	s_cselect_b64 s[72:73], -1, 0
	s_and_b64 vcc, exec, s[72:73]
                                        ; implicit-def: $sgpr74_sgpr75
	s_cbranch_vccnz .LBB4_935
; %bb.934:                              ;   in Loop: Header=BB4_933 Depth=2
	s_trap 2
	ds_read_b64 v[12:13], v0
	s_andn2_b64 s[72:73], s[72:73], exec
	s_mov_b32 s76, 0
	s_mov_b64 s[74:75], -1
	s_waitcnt lgkmcnt(0)
	flat_load_dword v1, v[12:13] glc
	s_waitcnt vmcnt(0) lgkmcnt(0)
	buffer_invl2
	buffer_wbinvl1_vol
	v_cmp_eq_u32_e32 vcc, 0, v1
	s_and_b64 vcc, vcc, exec
	s_or_b64 s[72:73], s[72:73], vcc
.LBB4_935:                              ;   in Loop: Header=BB4_933 Depth=2
	s_andn2_b64 s[70:71], s[70:71], exec
	s_and_b64 s[74:75], s[74:75], exec
	s_mov_b64 vcc, -1
	s_or_b64 s[70:71], s[70:71], s[74:75]
	s_and_saveexec_b64 s[74:75], s[72:73]
	s_cbranch_execz .LBB4_932
; %bb.936:                              ;   in Loop: Header=BB4_933 Depth=2
	s_sleep 1
	s_trap 2
	ds_read_b64 v[12:13], v0
	s_andn2_b64 s[70:71], s[70:71], exec
	s_waitcnt lgkmcnt(0)
	v_cmp_ge_u64_e32 vcc, v[12:13], v[28:29]
	s_orn2_b64 vcc, vcc, exec
	s_branch .LBB4_932
.LBB4_937:                              ;   in Loop: Header=BB4_83 Depth=1
	s_or_b64 exec, exec, s[66:67]
	s_and_saveexec_b64 vcc, s[68:69]
	s_xor_b64 vcc, exec, vcc
	s_cbranch_execz .LBB4_939
; %bb.938:                              ;   in Loop: Header=BB4_83 Depth=1
	ds_write_b32 v0, v56
	s_trap 2
.LBB4_939:                              ;   in Loop: Header=BB4_83 Depth=1
	s_or_b64 exec, exec, s[64:65]
	;;#ASMSTART
	s_wakeup
	;;#ASMEND
.LBB4_940:                              ;   in Loop: Header=BB4_83 Depth=1
	s_or_b64 exec, exec, s[62:63]
.LBB4_941:                              ;   in Loop: Header=BB4_83 Depth=1
	s_andn2_saveexec_b64 vcc, s[58:59]
	s_cbranch_execz .LBB4_943
; %bb.942:                              ;   in Loop: Header=BB4_83 Depth=1
	s_waitcnt vmcnt(0) lgkmcnt(0)
	buffer_wbinvl1_vol
	s_barrier
.LBB4_943:                              ;   in Loop: Header=BB4_83 Depth=1
	s_or_b64 exec, exec, vcc
	s_or_b64 exec, exec, s[36:37]
	s_and_saveexec_b64 vcc, s[28:29]
	s_xor_b64 s[36:37], exec, vcc
	s_cbranch_execnz .LBB4_862
.LBB4_944:                              ;   in Loop: Header=BB4_83 Depth=1
	s_andn2_saveexec_b64 s[36:37], s[36:37]
	s_cbranch_execz .LBB4_988
.LBB4_945:                              ;   in Loop: Header=BB4_83 Depth=1
	s_and_saveexec_b64 vcc, s[52:53]
	s_xor_b64 s[58:59], exec, vcc
	s_cbranch_execz .LBB4_985
; %bb.946:                              ;   in Loop: Header=BB4_83 Depth=1
	s_and_saveexec_b64 s[62:63], s[20:21]
	s_cbranch_execz .LBB4_984
; %bb.947:                              ;   in Loop: Header=BB4_83 Depth=1
	s_mov_b64 s[66:67], exec
	v_mbcnt_lo_u32_b32 v1, s66, 0
	v_mbcnt_hi_u32_b32 v1, s67, v1
	v_cmp_eq_u32_e32 vcc, 0, v1
	;;#ASMSTART
	s_waitcnt lgkmcnt(0) vmcnt(0)
	;;#ASMEND
	s_and_saveexec_b64 s[64:65], vcc
	s_cbranch_execz .LBB4_949
; %bb.948:                              ;   in Loop: Header=BB4_83 Depth=1
	s_bcnt1_i32_b64 vcc_lo, s[66:67]
	v_mov_b32_e32 v2, vcc_lo
	v_mov_b32_e32 v3, v36
	ds_add_u64 v0, v[2:3]
	s_trap 2
.LBB4_949:                              ;   in Loop: Header=BB4_83 Depth=1
	s_or_b64 exec, exec, s[64:65]
	s_trap 2
	ds_read_b64 v[2:3], v0
	v_add_co_u32_e32 v28, vcc, v28, v30
	v_addc_co_u32_e32 v29, vcc, 0, v29, vcc
	s_waitcnt lgkmcnt(0)
	v_cmp_lt_u64_e32 vcc, v[2:3], v[28:29]
	s_and_saveexec_b64 s[64:65], vcc
	s_cbranch_execz .LBB4_983
; %bb.950:                              ;   in Loop: Header=BB4_83 Depth=1
	s_mov_b32 s76, 0
	s_mov_b64 s[66:67], 0
                                        ; implicit-def: $sgpr68_sgpr69
                                        ; implicit-def: $sgpr70_sgpr71
	s_branch .LBB4_952
.LBB4_951:                              ;   in Loop: Header=BB4_952 Depth=2
	s_or_b64 exec, exec, s[74:75]
	s_and_b64 vcc, exec, vcc
	s_or_b64 s[66:67], vcc, s[66:67]
	s_andn2_b64 vcc, s[68:69], exec
	s_and_b64 s[68:69], s[70:71], exec
	s_or_b64 s[68:69], vcc, s[68:69]
	s_andn2_b64 exec, exec, s[66:67]
	s_cbranch_execz .LBB4_981
.LBB4_952:                              ;   Parent Loop BB4_83 Depth=1
                                        ; =>  This Inner Loop Header: Depth=2
	s_add_i32 s76, s76, 1
	s_cmpk_lg_i32 s76, 0x2710
	s_cselect_b64 s[72:73], -1, 0
	s_and_b64 vcc, exec, s[72:73]
                                        ; implicit-def: $sgpr74_sgpr75
	s_cbranch_vccnz .LBB4_954
; %bb.953:                              ;   in Loop: Header=BB4_952 Depth=2
	s_trap 2
	ds_read_b64 v[2:3], v0
	s_andn2_b64 s[72:73], s[72:73], exec
	s_mov_b32 s76, 0
	s_mov_b64 s[74:75], -1
	s_waitcnt vmcnt(0) lgkmcnt(0)
	flat_load_dword v1, v[2:3] glc
	s_waitcnt vmcnt(0) lgkmcnt(0)
	buffer_invl2
	buffer_wbinvl1_vol
	v_cmp_eq_u32_e32 vcc, 0, v1
	s_and_b64 vcc, vcc, exec
	s_or_b64 s[72:73], s[72:73], vcc
.LBB4_954:                              ;   in Loop: Header=BB4_952 Depth=2
	s_andn2_b64 s[70:71], s[70:71], exec
	s_and_b64 s[74:75], s[74:75], exec
	s_mov_b64 vcc, -1
	s_or_b64 s[70:71], s[70:71], s[74:75]
	s_and_saveexec_b64 s[74:75], s[72:73]
	s_cbranch_execz .LBB4_951
; %bb.955:                              ;   in Loop: Header=BB4_952 Depth=2
	s_sleep 1
	s_trap 2
	ds_read_b64 v[2:3], v0
	s_andn2_b64 s[70:71], s[70:71], exec
	s_waitcnt lgkmcnt(0)
	v_cmp_ge_u64_e32 vcc, v[2:3], v[28:29]
	s_orn2_b64 vcc, vcc, exec
	s_branch .LBB4_951
.LBB4_956:                              ;   in Loop: Header=BB4_83 Depth=1
	s_or_b64 exec, exec, s[66:67]
	s_and_saveexec_b64 vcc, s[68:69]
	s_xor_b64 vcc, exec, vcc
	s_cbranch_execz .LBB4_958
; %bb.957:                              ;   in Loop: Header=BB4_83 Depth=1
	ds_write_b32 v0, v56
	s_trap 2
.LBB4_958:                              ;   in Loop: Header=BB4_83 Depth=1
	s_or_b64 exec, exec, s[64:65]
	;;#ASMSTART
	s_wakeup
	;;#ASMEND
.LBB4_959:                              ;   in Loop: Header=BB4_83 Depth=1
	s_or_b64 exec, exec, s[62:63]
.LBB4_960:                              ;   in Loop: Header=BB4_83 Depth=1
	s_andn2_saveexec_b64 vcc, s[42:43]
	s_cbranch_execz .LBB4_962
; %bb.961:                              ;   in Loop: Header=BB4_83 Depth=1
	;;#ASMSTART
	s_waitcnt lgkmcnt(0) vmcnt(0)
	;;#ASMEND
	s_barrier
.LBB4_962:                              ;   in Loop: Header=BB4_83 Depth=1
	s_or_b64 exec, exec, vcc
	v_and_b32_e32 v1, 16, v46
                                        ; implicit-def: $vgpr2
	s_andn2_saveexec_b64 s[30:31], s[30:31]
	s_cbranch_execz .LBB4_974
	s_branch .LBB4_971
.LBB4_963:                              ;   in Loop: Header=BB4_83 Depth=1
	s_or_b64 exec, exec, s[66:67]
	s_and_saveexec_b64 vcc, s[68:69]
	s_xor_b64 vcc, exec, vcc
	s_cbranch_execz .LBB4_965
; %bb.964:                              ;   in Loop: Header=BB4_83 Depth=1
	ds_write_b32 v0, v56
	s_trap 2
.LBB4_965:                              ;   in Loop: Header=BB4_83 Depth=1
	s_or_b64 exec, exec, s[64:65]
	;;#ASMSTART
	s_wakeup
	;;#ASMEND
.LBB4_966:                              ;   in Loop: Header=BB4_83 Depth=1
	s_or_b64 exec, exec, s[62:63]
.LBB4_967:                              ;   in Loop: Header=BB4_83 Depth=1
	s_andn2_saveexec_b64 vcc, s[42:43]
	s_cbranch_execz .LBB4_969
; %bb.968:                              ;   in Loop: Header=BB4_83 Depth=1
	s_waitcnt vmcnt(0) lgkmcnt(0)
	buffer_wbinvl1_vol
	s_barrier
.LBB4_969:                              ;   in Loop: Header=BB4_83 Depth=1
	s_or_b64 exec, exec, vcc
	s_or_b64 exec, exec, s[30:31]
                                        ; implicit-def: $vgpr1
	s_and_saveexec_b64 vcc, s[56:57]
	s_xor_b64 s[30:31], exec, vcc
	s_cbranch_execnz .LBB4_914
.LBB4_970:                              ;   in Loop: Header=BB4_83 Depth=1
	s_andn2_saveexec_b64 s[30:31], s[30:31]
	s_cbranch_execz .LBB4_974
.LBB4_971:                              ;   in Loop: Header=BB4_83 Depth=1
	s_trap 2
	ds_read_b32 v3, v0
	v_cmp_lt_i32_e32 vcc, 0, v2
	v_and_b32_e32 v2, 16, v46
	v_and_b32_e32 v1, 16, v46
	s_waitcnt lgkmcnt(0)
	v_readfirstlane_b32 s42, v3
	s_cmp_eq_u32 s42, 0
	s_cselect_b64 s[42:43], -1, 0
	s_and_b64 s[42:43], vcc, s[42:43]
	v_cmp_ne_u32_e32 vcc, 0, v2
	s_and_b64 s[42:43], vcc, s[42:43]
	s_and_saveexec_b64 vcc, s[42:43]
	s_cbranch_execz .LBB4_973
; %bb.972:                              ;   in Loop: Header=BB4_83 Depth=1
	v_mov_b32_e32 v1, 1
	s_waitcnt vmcnt(0)
	buffer_wbinvl1_vol
.LBB4_973:                              ;   in Loop: Header=BB4_83 Depth=1
	s_or_b64 exec, exec, vcc
.LBB4_974:                              ;   in Loop: Header=BB4_83 Depth=1
	s_or_b64 exec, exec, s[30:31]
	v_cmp_ne_u32_e32 vcc, 0, v1
	s_mov_b64 s[30:31], s[38:39]
	s_mov_b64 s[42:43], s[36:37]
	s_and_saveexec_b64 s[62:63], vcc
; %bb.975:                              ;   in Loop: Header=BB4_83 Depth=1
	s_andn2_b64 vcc, s[36:37], exec
	s_and_b64 s[30:31], s[16:17], exec
	s_or_b64 s[42:43], vcc, s[30:31]
	s_andn2_b64 vcc, s[38:39], exec
	s_and_b64 s[30:31], s[18:19], exec
	s_or_b64 s[30:31], vcc, s[30:31]
; %bb.976:                              ;   in Loop: Header=BB4_83 Depth=1
	s_or_b64 exec, exec, s[62:63]
	s_andn2_b64 vcc, s[36:37], exec
	s_and_b64 s[42:43], s[42:43], exec
	s_or_b64 s[42:43], vcc, s[42:43]
	s_andn2_b64 vcc, s[38:39], exec
	s_and_b64 s[30:31], s[30:31], exec
	s_or_b64 vcc, vcc, s[30:31]
.LBB4_977:                              ;   in Loop: Header=BB4_83 Depth=1
	s_or_b64 exec, exec, s[34:35]
	s_andn2_b64 s[30:31], s[36:37], exec
	s_and_b64 s[34:35], s[42:43], exec
	s_or_b64 s[36:37], s[30:31], s[34:35]
	s_andn2_b64 s[30:31], s[38:39], exec
	s_and_b64 vcc, vcc, exec
	s_or_b64 s[38:39], s[30:31], vcc
.LBB4_978:                              ;   in Loop: Header=BB4_83 Depth=1
	s_or_b64 exec, exec, s[40:41]
	s_and_saveexec_b64 vcc, s[38:39]
	s_cbranch_execz .LBB4_980
; %bb.979:                              ;   in Loop: Header=BB4_83 Depth=1
	s_or_b64 s[36:37], s[36:37], exec
	flat_store_dword v[52:53], v56
.LBB4_980:                              ;   in Loop: Header=BB4_83 Depth=1
	s_or_b64 exec, exec, vcc
	s_andn2_b64 vcc, s[58:59], exec
	s_and_b64 s[30:31], s[36:37], exec
	s_or_b64 s[58:59], vcc, s[30:31]
	s_or_b64 exec, exec, s[60:61]
	s_and_saveexec_b64 s[30:31], s[58:59]
	s_cbranch_execz .LBB4_82
	s_branch .LBB4_992
.LBB4_981:                              ;   in Loop: Header=BB4_83 Depth=1
	s_or_b64 exec, exec, s[66:67]
	s_and_saveexec_b64 vcc, s[68:69]
	s_xor_b64 vcc, exec, vcc
	s_cbranch_execz .LBB4_983
; %bb.982:                              ;   in Loop: Header=BB4_83 Depth=1
	ds_write_b32 v0, v56
	s_trap 2
.LBB4_983:                              ;   in Loop: Header=BB4_83 Depth=1
	s_or_b64 exec, exec, s[64:65]
	;;#ASMSTART
	s_wakeup
	;;#ASMEND
.LBB4_984:                              ;   in Loop: Header=BB4_83 Depth=1
	s_or_b64 exec, exec, s[62:63]
.LBB4_985:                              ;   in Loop: Header=BB4_83 Depth=1
	s_andn2_saveexec_b64 vcc, s[58:59]
	s_cbranch_execz .LBB4_987
; %bb.986:                              ;   in Loop: Header=BB4_83 Depth=1
	;;#ASMSTART
	s_waitcnt lgkmcnt(0) vmcnt(0)
	;;#ASMEND
	s_barrier
.LBB4_987:                              ;   in Loop: Header=BB4_83 Depth=1
	s_or_b64 exec, exec, vcc
.LBB4_988:                              ;   in Loop: Header=BB4_83 Depth=1
	s_or_b64 exec, exec, s[36:37]
	v_and_b32_e32 v1, 32, v46
	v_cmp_ne_u32_e32 vcc, 0, v1
	s_andn2_b64 s[36:37], s[38:39], exec
	s_and_b64 vcc, vcc, exec
	s_or_b64 vcc, s[36:37], vcc
.LBB4_989:                              ;   in Loop: Header=BB4_83 Depth=1
	s_or_b64 exec, exec, s[42:43]
	s_andn2_b64 s[36:37], s[38:39], exec
	s_and_b64 vcc, vcc, exec
	s_or_b64 s[38:39], s[36:37], vcc
.LBB4_990:                              ;   in Loop: Header=BB4_83 Depth=1
	s_or_b64 exec, exec, s[40:41]
	s_and_b64 s[58:59], s[38:39], exec
                                        ; implicit-def: $vgpr42
                                        ; implicit-def: $vgpr19
                                        ; implicit-def: $vgpr2
                                        ; implicit-def: $vgpr3
	s_andn2_saveexec_b64 s[60:61], s[60:61]
	s_cbranch_execnz .LBB4_92
.LBB4_991:                              ;   in Loop: Header=BB4_83 Depth=1
	s_or_b64 exec, exec, s[60:61]
	s_and_saveexec_b64 s[30:31], s[58:59]
	s_cbranch_execz .LBB4_82
.LBB4_992:                              ;   in Loop: Header=BB4_83 Depth=1
	v_add_co_u32_e32 v8, vcc, 1, v8
	v_addc_co_u32_e32 v9, vcc, 0, v9, vcc
	flat_store_dwordx2 v[22:23], v[8:9]
	s_branch .LBB4_82
.LBB4_993:
	s_or_b64 exec, exec, s[50:51]
	v_accvgpr_read_b32 v51, a5
	v_accvgpr_read_b32 v31, a0
	;; [unrolled: 1-line block ×4, first 2 shown]
.LBB4_994:
	s_or_b64 exec, exec, s[48:49]
	v_and_b32_e32 v0, 0x800, v46
	v_cmp_eq_u32_e32 vcc, 0, v0
	s_and_saveexec_b64 s[4:5], vcc
	s_cbranch_execz .LBB4_1029
; %bb.995:
	v_and_b32_e32 v0, 48, v46
	v_cmp_ne_u32_e32 vcc, 0, v0
	s_and_saveexec_b64 s[6:7], vcc
	s_cbranch_execz .LBB4_997
; %bb.996:
	s_waitcnt lgkmcnt(0)
	flat_store_dwordx2 v[50:51], v[8:9] offset:104
.LBB4_997:
	s_or_b64 exec, exec, s[6:7]
	s_movk_i32 s6, 0x88
	v_and_b32_e32 v0, 0x88, v46
	v_cmp_eq_u32_e32 vcc, s6, v0
	s_and_saveexec_b64 s[6:7], vcc
	s_cbranch_execz .LBB4_1009
; %bb.998:
	s_waitcnt lgkmcnt(0)
	v_add_u32_e32 v0, -1, v8
	v_and_b32_e32 v0, 7, v0
	v_mad_u64_u32 v[0:1], s[10:11], v0, 24, v[6:7]
	v_add_co_u32_e32 v0, vcc, 8, v0
	v_addc_co_u32_e32 v1, vcc, 0, v1, vcc
	s_mov_b64 s[10:11], 0
	v_mov_b32_e32 v2, 0
	s_movk_i32 s24, 0x270e
                                        ; implicit-def: $sgpr12_sgpr13
	s_branch .LBB4_1003
.LBB4_999:                              ;   in Loop: Header=BB4_1003 Depth=1
	s_or_b64 exec, exec, s[22:23]
	v_mov_b32_e32 v3, 0
	s_orn2_b64 s[20:21], s[20:21], exec
.LBB4_1000:                             ;   in Loop: Header=BB4_1003 Depth=1
	s_or_b64 exec, exec, s[18:19]
	s_and_b64 s[18:19], s[20:21], exec
	v_mov_b32_e32 v2, v3
.LBB4_1001:                             ;   in Loop: Header=BB4_1003 Depth=1
	s_or_b64 exec, exec, s[16:17]
	s_xor_b64 s[16:17], s[18:19], -1
	s_andn2_b64 s[12:13], s[12:13], exec
	s_and_b64 s[16:17], s[16:17], exec
	s_or_b64 s[12:13], s[12:13], s[16:17]
.LBB4_1002:                             ;   in Loop: Header=BB4_1003 Depth=1
	s_or_b64 exec, exec, s[14:15]
	s_and_b64 s[14:15], exec, s[12:13]
	s_or_b64 s[10:11], s[14:15], s[10:11]
	s_andn2_b64 exec, exec, s[10:11]
	s_cbranch_execz .LBB4_1008
.LBB4_1003:                             ; =>This Inner Loop Header: Depth=1
	flat_load_dwordx2 v[4:5], v[0:1] glc
	s_waitcnt vmcnt(0)
	s_or_b64 s[12:13], s[12:13], exec
	s_waitcnt lgkmcnt(0)
	v_cmp_ne_u64_e32 vcc, -1, v[4:5]
	s_and_saveexec_b64 s[14:15], vcc
	s_cbranch_execz .LBB4_1002
; %bb.1004:                             ;   in Loop: Header=BB4_1003 Depth=1
	v_and_b32_e32 v3, 64, v46
	v_cmp_eq_u32_e32 vcc, 0, v3
	s_mov_b64 s[18:19], 0
	s_and_saveexec_b64 s[16:17], vcc
	s_cbranch_execz .LBB4_1001
; %bb.1005:                             ;   in Loop: Header=BB4_1003 Depth=1
	v_add_u32_e32 v3, 1, v2
	v_cmp_lt_i32_e32 vcc, s24, v2
	s_mov_b64 s[20:21], -1
	s_and_saveexec_b64 s[18:19], vcc
	s_cbranch_execz .LBB4_1000
; %bb.1006:                             ;   in Loop: Header=BB4_1003 Depth=1
	s_trap 2
	ds_read_b64 v[2:3], v0
	s_waitcnt lgkmcnt(0)
	flat_load_dword v2, v[2:3] glc
	s_waitcnt vmcnt(0) lgkmcnt(0)
	buffer_invl2
	buffer_wbinvl1_vol
	v_cmp_ne_u32_e32 vcc, 0, v2
	s_and_saveexec_b64 s[22:23], vcc
	s_cbranch_execz .LBB4_999
; %bb.1007:                             ;   in Loop: Header=BB4_1003 Depth=1
	v_or_b32_e32 v46, 64, v46
	s_xor_b64 s[20:21], exec, -1
	ds_write_b32 v0, v2
	s_trap 2
	s_branch .LBB4_999
.LBB4_1008:
	s_or_b64 exec, exec, s[10:11]
.LBB4_1009:
	s_or_b64 exec, exec, s[6:7]
	v_and_b32_e32 v0, 0x2000, v46
	v_cmp_ne_u32_e32 vcc, 0, v0
	s_and_saveexec_b64 s[6:7], vcc
	s_cbranch_execz .LBB4_1011
; %bb.1010:
	s_trap 2
	ds_read_b64 v[0:1], v0
	v_accvgpr_read_b32 v2, a2
	v_accvgpr_read_b32 v3, a3
	s_waitcnt lgkmcnt(0)
	flat_store_dwordx2 v[2:3], v[0:1] offset:16
.LBB4_1011:
	s_or_b64 exec, exec, s[6:7]
	v_cmp_ne_u32_e32 vcc, 64, v21
	s_and_b64 exec, exec, vcc
	s_cbranch_execz .LBB4_1029
; %bb.1012:
	v_cmp_ne_u32_sdwa s[6:7], v21, v25 src0_sel:DWORD src1_sel:WORD_0
	s_and_saveexec_b64 s[10:11], s[6:7]
	s_xor_b64 s[6:7], exec, s[10:11]
	s_cbranch_execz .LBB4_1027
; %bb.1013:
	v_and_b32_e32 v0, 63, v31
	v_cmp_eq_u32_e32 vcc, 0, v0
	s_and_saveexec_b64 s[10:11], vcc
	s_cbranch_execz .LBB4_1026
; %bb.1014:
	s_mov_b64 s[14:15], exec
	v_mbcnt_lo_u32_b32 v0, s14, 0
	v_mbcnt_hi_u32_b32 v0, s15, v0
	v_cmp_eq_u32_e32 vcc, 0, v0
	s_waitcnt vmcnt(0) lgkmcnt(0)
	buffer_wbinvl1_vol
	s_and_saveexec_b64 s[12:13], vcc
	s_cbranch_execz .LBB4_1016
; %bb.1015:
	s_bcnt1_i32_b64 s14, s[14:15]
	v_mov_b32_e32 v0, s14
	v_mov_b32_e32 v1, 0
	ds_add_u64 v0, v[0:1]
	s_trap 2
.LBB4_1016:
	s_or_b64 exec, exec, s[12:13]
	v_ashrrev_i32_e32 v0, 31, v21
	v_lshrrev_b32_e32 v0, 26, v0
	v_add_u32_e32 v0, v21, v0
	v_ashrrev_i32_e32 v0, 6, v0
	s_trap 2
	ds_read_b64 v[2:3], v0
	v_ashrrev_i32_e32 v1, 31, v0
	v_add_co_u32_e32 v0, vcc, v28, v0
	v_addc_co_u32_e32 v1, vcc, v29, v1, vcc
	s_waitcnt lgkmcnt(0)
	v_cmp_lt_u64_e32 vcc, v[2:3], v[0:1]
	s_and_saveexec_b64 s[12:13], vcc
	s_cbranch_execz .LBB4_1025
; %bb.1017:
	s_mov_b32 s26, 0
	s_mov_b64 s[14:15], 0
                                        ; implicit-def: $sgpr16_sgpr17
                                        ; implicit-def: $sgpr18_sgpr19
	s_branch .LBB4_1019
.LBB4_1018:                             ;   in Loop: Header=BB4_1019 Depth=1
	s_or_b64 exec, exec, s[24:25]
	s_and_b64 s[20:21], exec, s[22:23]
	s_or_b64 s[14:15], s[20:21], s[14:15]
	s_andn2_b64 s[16:17], s[16:17], exec
	s_and_b64 s[20:21], s[18:19], exec
	s_or_b64 s[16:17], s[16:17], s[20:21]
	s_andn2_b64 exec, exec, s[14:15]
	s_cbranch_execz .LBB4_1023
.LBB4_1019:                             ; =>This Inner Loop Header: Depth=1
	s_add_i32 s26, s26, 1
	s_cmpk_lg_i32 s26, 0x2710
	s_cselect_b64 s[20:21], -1, 0
	s_and_b64 vcc, exec, s[20:21]
                                        ; implicit-def: $sgpr24_sgpr25
	s_cbranch_vccnz .LBB4_1021
; %bb.1020:                             ;   in Loop: Header=BB4_1019 Depth=1
	s_trap 2
	ds_read_b64 v[2:3], v0
	s_andn2_b64 s[20:21], s[20:21], exec
	s_mov_b32 s26, 0
	s_mov_b64 s[24:25], -1
	s_waitcnt lgkmcnt(0)
	flat_load_dword v2, v[2:3] glc
	s_waitcnt vmcnt(0) lgkmcnt(0)
	buffer_invl2
	buffer_wbinvl1_vol
	v_cmp_eq_u32_e32 vcc, 0, v2
	s_and_b64 s[22:23], vcc, exec
	s_or_b64 s[20:21], s[20:21], s[22:23]
.LBB4_1021:                             ;   in Loop: Header=BB4_1019 Depth=1
	s_andn2_b64 s[18:19], s[18:19], exec
	s_and_b64 s[24:25], s[24:25], exec
	s_mov_b64 s[22:23], -1
	s_or_b64 s[18:19], s[18:19], s[24:25]
	s_and_saveexec_b64 s[24:25], s[20:21]
	s_cbranch_execz .LBB4_1018
; %bb.1022:                             ;   in Loop: Header=BB4_1019 Depth=1
	s_sleep 1
	s_trap 2
	ds_read_b64 v[2:3], v0
	s_andn2_b64 s[18:19], s[18:19], exec
	s_waitcnt lgkmcnt(0)
	v_cmp_ge_u64_e32 vcc, v[2:3], v[0:1]
	s_orn2_b64 s[22:23], vcc, exec
	s_branch .LBB4_1018
.LBB4_1023:
	s_or_b64 exec, exec, s[14:15]
	s_and_saveexec_b64 s[14:15], s[16:17]
	s_xor_b64 s[14:15], exec, s[14:15]
	s_cbranch_execz .LBB4_1025
; %bb.1024:
	v_mov_b32_e32 v0, 1
	ds_write_b32 v0, v0
	s_trap 2
.LBB4_1025:
	s_or_b64 exec, exec, s[12:13]
	;;#ASMSTART
	s_wakeup
	;;#ASMEND
.LBB4_1026:
	s_or_b64 exec, exec, s[10:11]
.LBB4_1027:
	s_andn2_saveexec_b64 s[6:7], s[6:7]
	s_cbranch_execz .LBB4_1029
; %bb.1028:
	s_waitcnt vmcnt(0) lgkmcnt(0)
	buffer_wbinvl1_vol
	s_barrier
.LBB4_1029:
	s_or_b64 exec, exec, s[4:5]
.LBB4_1030:
	s_andn2_saveexec_b64 s[26:27], s[46:47]
	s_cbranch_execz .LBB4_1032
; %bb.1031:
	s_getpc_b64 s[4:5]
	s_add_u32 s4, s4, __PRETTY_FUNCTION__._ZN10PrimitivesIa7FuncSumIaE12FanSymmetricILi1EELi0E11ProtoSimpleILi1ELi1ELi0ELi1ELi0ELi0EELi0ELb0ELi0ELi0ELi0EEC2EiiPKiS8_PKvPvmhhhP15ncclDevWorkCollP14ncclDevWorkP2pii@rel32@lo+4
	s_addc_u32 s5, s5, __PRETTY_FUNCTION__._ZN10PrimitivesIa7FuncSumIaE12FanSymmetricILi1EELi0E11ProtoSimpleILi1ELi1ELi0ELi1ELi0ELi0EELi0ELb0ELi0ELi0ELi0EEC2EiiPKiS8_PKvPvmhhhP15ncclDevWorkCollP14ncclDevWorkP2pii@rel32@hi+12
	v_mov_b32_e32 v0, s4
	v_mov_b32_e32 v1, s5
	s_getpc_b64 s[6:7]
	s_add_u32 s6, s6, __assert_fail@rel32@lo+4
	s_addc_u32 s7, s7, __assert_fail@rel32@hi+12
	s_swappc_b64 s[30:31], s[6:7]
	; divergent unreachable
.LBB4_1032:
	s_or_b64 exec, exec, s[26:27]
.LBB4_1033:
	s_or_b64 exec, exec, s[44:45]
	v_readlane_b32 s30, v63, 51
	v_readlane_b32 s31, v63, 52
	;; [unrolled: 1-line block ×53, first 2 shown]
	v_accvgpr_read_b32 v62, a28             ;  Reload Reuse
	v_accvgpr_read_b32 v61, a27             ;  Reload Reuse
	;; [unrolled: 1-line block ×15, first 2 shown]
	v_readlane_b32 s4, v63, 53
	s_or_saveexec_b64 s[6:7], -1
	buffer_load_dword v63, off, s[0:3], s33 ; 4-byte Folded Reload
	s_mov_b64 exec, s[6:7]
	s_addk_i32 s32, 0xfc00
	s_mov_b32 s33, s4
	s_waitcnt vmcnt(0) lgkmcnt(0)
	s_setpc_b64 s[30:31]
.Lfunc_end4:
	.size	_ZN12_GLOBAL__N_17runRingIa7FuncSumIaE11ProtoSimpleILi1ELi1ELi0ELi1ELi0ELi0EELi0ELi1ELi0EEEviiP15ncclDevWorkColl, .Lfunc_end4-_ZN12_GLOBAL__N_17runRingIa7FuncSumIaE11ProtoSimpleILi1ELi1ELi0ELi1ELi0ELi0EELi0ELi1ELi0EEEviiP15ncclDevWorkColl
                                        ; -- End function
	.section	.AMDGPU.csdata,"",@progbits
; Function info:
; codeLenInByte = 30448
; NumSgprs: 89
; NumVgprs: 64
; NumAgprs: 29
; TotalNumVgprs: 93
; ScratchSize: 80
; MemoryBound: 1
	.text
	.p2align	2                               ; -- Begin function _Z46ncclDevFunc_Broadcast_RING_SIMPLE_Sum_i8_0_0_1v
	.type	_Z46ncclDevFunc_Broadcast_RING_SIMPLE_Sum_i8_0_0_1v,@function
_Z46ncclDevFunc_Broadcast_RING_SIMPLE_Sum_i8_0_0_1v: ; @_Z46ncclDevFunc_Broadcast_RING_SIMPLE_Sum_i8_0_0_1v
; %bb.0:
	s_waitcnt vmcnt(0) expcnt(0) lgkmcnt(0)
	s_mov_b32 s4, s33
	s_mov_b32 s33, s32
	s_or_saveexec_b64 s[6:7], -1
	buffer_store_dword v43, off, s[0:3], s33 offset:4 ; 4-byte Folded Spill
	s_mov_b64 exec, s[6:7]
	v_writelane_b32 v43, s4, 61
	v_accvgpr_write_b32 a29, v40            ;  Reload Reuse
	s_addk_i32 s32, 0x400
	v_accvgpr_write_b32 a30, v41            ;  Reload Reuse
	v_accvgpr_write_b32 a31, v42            ;  Reload Reuse
	buffer_store_dword v63, off, s[0:3], s33 ; 4-byte Folded Spill
	v_writelane_b32 v43, s34, 0
	v_writelane_b32 v43, s35, 1
	;; [unrolled: 1-line block ×61, first 2 shown]
	s_trap 2
	ds_read_b32 v0, v0
	v_mov_b32_e32 v40, v31
	s_mov_b32 s85, s12
	s_mov_b64 s[86:87], s[8:9]
	s_waitcnt lgkmcnt(0)
	v_cmp_gt_i32_e32 vcc, 1, v0
	s_cbranch_vccnz .LBB5_8
; %bb.1:
	s_mov_b32 s92, 0
	v_and_b32_e32 v41, 0x3ff, v40
	s_mov_b64 s[88:89], src_shared_base
	v_mov_b32_e32 v42, 6
	s_branch .LBB5_3
.LBB5_2:                                ;   in Loop: Header=BB5_3 Depth=1
	s_or_b64 exec, exec, s[90:91]
	s_trap 2
	ds_read_b32 v0, v0
	s_add_i32 s92, s92, 1
	s_waitcnt lgkmcnt(0)
	v_cmp_lt_i32_e32 vcc, s92, v0
	s_cbranch_vccz .LBB5_8
.LBB5_3:                                ; =>This Inner Loop Header: Depth=1
	s_trap 2
	ds_read_b32 v0, v0
	s_cmp_eq_u32 s92, 0
	s_cbranch_scc1 .LBB5_6
; %bb.4:                                ;   in Loop: Header=BB5_3 Depth=1
	s_trap 2
	s_waitcnt lgkmcnt(0)
	ds_read_b32 v1, v0
	s_waitcnt lgkmcnt(0)
	v_xor_b32_e32 v1, v1, v0
	v_and_b32_e32 v1, 0xff0000, v1
	v_cmp_eq_u32_e32 vcc, 0, v1
	s_cbranch_vccnz .LBB5_6
; %bb.5:                                ;   in Loop: Header=BB5_3 Depth=1
	s_barrier
	ds_read_b32 v0, v0
.LBB5_6:                                ;   in Loop: Header=BB5_3 Depth=1
	s_waitcnt lgkmcnt(0)
	v_lshlrev_b32_sdwa v1, v42, v0 dst_sel:DWORD dst_unused:UNUSED_PAD src0_sel:DWORD src1_sel:BYTE_2
	v_cmp_lt_u32_e32 vcc, v41, v1
	s_and_saveexec_b64 s[90:91], vcc
	s_cbranch_execz .LBB5_2
; %bb.7:                                ;   in Loop: Header=BB5_3 Depth=1
	s_mov_b64 s[8:9], s[86:87]
	s_mov_b32 s12, s85
	v_mov_b32_e32 v31, v40
	v_mov_b32_e32 v0, v41
	;; [unrolled: 1-line block ×3, first 2 shown]
	s_getpc_b64 s[4:5]
	s_add_u32 s4, s4, _ZN12_GLOBAL__N_17runRingIa7FuncSumIaE11ProtoSimpleILi1ELi1ELi0ELi1ELi0ELi0EELi0ELi1ELi0EEEviiP15ncclDevWorkColl@rel32@lo+4
	s_addc_u32 s5, s5, _ZN12_GLOBAL__N_17runRingIa7FuncSumIaE11ProtoSimpleILi1ELi1ELi0ELi1ELi0ELi0EELi0ELi1ELi0EEEviiP15ncclDevWorkColl@rel32@hi+12
	s_swappc_b64 s[30:31], s[4:5]
	s_branch .LBB5_2
.LBB5_8:
	buffer_load_dword v63, off, s[0:3], s33 ; 4-byte Folded Reload
	v_readlane_b32 s30, v43, 59
	v_readlane_b32 s31, v43, 60
	;; [unrolled: 1-line block ×61, first 2 shown]
	v_accvgpr_read_b32 v42, a31             ;  Reload Reuse
	v_accvgpr_read_b32 v41, a30             ;  Reload Reuse
	;; [unrolled: 1-line block ×3, first 2 shown]
	v_readlane_b32 s4, v43, 61
	s_or_saveexec_b64 s[6:7], -1
	buffer_load_dword v43, off, s[0:3], s33 offset:4 ; 4-byte Folded Reload
	s_mov_b64 exec, s[6:7]
	s_addk_i32 s32, 0xfc00
	s_mov_b32 s33, s4
	s_waitcnt vmcnt(0)
	s_setpc_b64 s[30:31]
.Lfunc_end5:
	.size	_Z46ncclDevFunc_Broadcast_RING_SIMPLE_Sum_i8_0_0_1v, .Lfunc_end5-_Z46ncclDevFunc_Broadcast_RING_SIMPLE_Sum_i8_0_0_1v
                                        ; -- End function
	.section	.AMDGPU.csdata,"",@progbits
; Function info:
; codeLenInByte = 1356
; NumSgprs: 97
; NumVgprs: 64
; NumAgprs: 32
; TotalNumVgprs: 96
; ScratchSize: 96
; MemoryBound: 0
	.text
	.p2align	2                               ; -- Begin function _ZN12_GLOBAL__N_17runRingIa7FuncSumIaE7ProtoLLLi0ELi2ELi0EEEviiP15ncclDevWorkColl
	.type	_ZN12_GLOBAL__N_17runRingIa7FuncSumIaE7ProtoLLLi0ELi2ELi0EEEviiP15ncclDevWorkColl,@function
_ZN12_GLOBAL__N_17runRingIa7FuncSumIaE7ProtoLLLi0ELi2ELi0EEEviiP15ncclDevWorkColl: ; @_ZN12_GLOBAL__N_17runRingIa7FuncSumIaE7ProtoLLLi0ELi2ELi0EEEviiP15ncclDevWorkColl
; %bb.0:
	s_waitcnt vmcnt(0) expcnt(0) lgkmcnt(0)
	s_or_saveexec_b64 s[4:5], -1
	buffer_store_dword v63, off, s[0:3], s32 offset:24 ; 4-byte Folded Spill
	s_mov_b64 exec, s[4:5]
	v_accvgpr_write_b32 a23, v40            ;  Reload Reuse
	v_accvgpr_write_b32 a24, v41            ;  Reload Reuse
	;; [unrolled: 1-line block ×9, first 2 shown]
	buffer_store_dword v57, off, s[0:3], s32 offset:20 ; 4-byte Folded Spill
	buffer_store_dword v58, off, s[0:3], s32 offset:16 ; 4-byte Folded Spill
	;; [unrolled: 1-line block ×5, first 2 shown]
	buffer_store_dword v62, off, s[0:3], s32 ; 4-byte Folded Spill
	v_writelane_b32 v63, s34, 0
	v_writelane_b32 v63, s35, 1
	;; [unrolled: 1-line block ×28, first 2 shown]
	s_trap 2
	ds_read_b64 v[4:5], v0
	flat_load_ushort v9, v[2:3] offset:8
	flat_load_dwordx2 v[20:21], v[2:3]
	ds_read_b32 v6, v0
	v_mov_b32_e32 v22, v0
                                        ; implicit-def: $vgpr16_vgpr17
                                        ; implicit-def: $agpr0_agpr1
	s_waitcnt lgkmcnt(0)
	flat_load_dwordx2 v[14:15], v[4:5]
                                        ; implicit-def: $vgpr4_vgpr5
	s_waitcnt vmcnt(0)
	v_mov_b32_e32 v8, v21
	v_cmp_ne_u32_sdwa s[4:5], v20, v6 src0_sel:BYTE_0 src1_sel:DWORD
	s_and_saveexec_b64 s[6:7], s[4:5]
	s_xor_b64 s[4:5], exec, s[6:7]
	s_cbranch_execz .LBB6_6
; %bb.1:
	v_not_b32_sdwa v0, v20 dst_sel:DWORD dst_unused:UNUSED_PAD src0_sel:BYTE_0
	v_cmp_ne_u32_sdwa s[6:7], v20, v6 src0_sel:BYTE_1 src1_sel:DWORD
                                        ; implicit-def: $vgpr16_vgpr17
                                        ; implicit-def: $vgpr4_vgpr5
                                        ; implicit-def: $agpr0_agpr1
	s_and_saveexec_b64 s[10:11], s[6:7]
	s_xor_b64 s[6:7], exec, s[10:11]
	s_cbranch_execz .LBB6_3
; %bb.2:
	flat_load_dwordx4 v[10:13], v[2:3] offset:72
	flat_load_dwordx2 v[4:5], v[2:3] offset:96
	v_add_u32_e32 v0, v6, v0
	v_ashrrev_i32_e32 v6, 31, v0
	s_waitcnt vmcnt(0) lgkmcnt(0)
	v_mul_lo_u32 v6, v12, v6
	v_mad_u64_u32 v[10:11], s[10:11], v12, v0, v[10:11]
	v_mul_lo_u32 v0, v13, v0
	v_add3_u32 v11, v0, v11, v6
	v_accvgpr_write_b32 a0, v10
	v_lshrrev_b64 v[16:17], 21, v[4:5]
	v_accvgpr_write_b32 a1, v11
	v_pk_mov_b32 v[4:5], v[12:13], v[12:13] op_sel:[0,1]
                                        ; implicit-def: $vgpr0
.LBB6_3:
	s_andn2_saveexec_b64 s[6:7], s[6:7]
	s_cbranch_execz .LBB6_5
; %bb.4:
	flat_load_dwordx4 v[10:13], v[2:3] offset:72
	flat_load_dwordx4 v[4:7], v[2:3] offset:88
	v_add_u32_sdwa v0, v20, v0 dst_sel:DWORD dst_unused:UNUSED_PAD src0_sel:BYTE_1 src1_sel:DWORD
	s_waitcnt vmcnt(0) lgkmcnt(0)
	v_ashrrev_i32_e32 v6, 31, v0
	v_mul_lo_u32 v6, v12, v6
	v_mad_u64_u32 v[10:11], s[10:11], v12, v0, v[10:11]
	v_mul_lo_u32 v0, v13, v0
	v_add3_u32 v11, v0, v11, v6
	v_accvgpr_write_b32 a0, v10
	v_accvgpr_write_b32 a1, v11
	v_lshrrev_b32_e32 v16, 10, v7
.LBB6_5:
	s_or_b64 exec, exec, s[6:7]
.LBB6_6:
	s_andn2_saveexec_b64 s[4:5], s[4:5]
	s_cbranch_execz .LBB6_8
; %bb.7:
	flat_load_dwordx2 v[4:5], v[2:3] offset:72
	flat_load_dwordx2 v[16:17], v[2:3] offset:96
	v_pk_mov_b32 v[6:7], 0, 0
	v_accvgpr_write_b32 a0, v6
	v_accvgpr_write_b32 a1, v7
.LBB6_8:
	s_or_b64 exec, exec, s[4:5]
	flat_load_dwordx4 v[10:13], v[2:3] offset:16
	s_brev_b32 s4, 34
	v_and_b32_e32 v0, 0x44000000, v20
	v_cmp_eq_u32_e64 s[20:21], s4, v0
	v_cndmask_b32_e64 v2, v1, 64, s[20:21]
	v_bfe_u32 v3, v8, 1, 30
	v_cmp_ge_i32_e32 vcc, v22, v2
	s_and_saveexec_b64 s[4:5], vcc
	s_xor_b64 s[6:7], exec, s[4:5]
	s_cbranch_execz .LBB6_40
; %bb.9:
	s_waitcnt vmcnt(0) lgkmcnt(0)
	v_cmp_ne_u64_e32 vcc, v[12:13], v[10:11]
	v_cmp_eq_u32_e64 s[4:5], v14, v3
	s_and_b64 s[10:11], vcc, s[4:5]
	s_and_saveexec_b64 s[4:5], s[10:11]
	s_cbranch_execz .LBB6_39
; %bb.10:
	v_sub_u32_e32 v23, v22, v2
	v_ashrrev_i32_e32 v0, 31, v23
	v_lshrrev_b32_e32 v0, 26, v0
	v_add_u32_e32 v0, v23, v0
	v_and_b32_e32 v3, 0xffffffc0, v0
	v_sub_u32_e32 v20, v23, v3
	v_cmp_gt_i32_e32 vcc, 1, v20
	v_mov_b32_e32 v3, 0
	s_and_saveexec_b64 s[10:11], vcc
; %bb.11:
	v_accvgpr_read_b32 v7, a1
	v_accvgpr_read_b32 v6, a0
	v_add_u32_e32 v3, v12, v6
	v_add_u32_e32 v6, v10, v6
	v_or_b32_e32 v3, v3, v6
	v_and_b32_e32 v3, 15, v3
	v_cmp_ne_u32_e32 vcc, 0, v3
	v_cndmask_b32_e64 v3, 0, 1, vcc
; %bb.12:
	s_or_b64 exec, exec, s[10:11]
	v_ashrrev_i32_e32 v24, 6, v0
	v_sub_u32_e32 v22, v1, v2
	;;#ASMSTART
	;;#ASMEND
	v_cmp_ne_u32_e32 vcc, 0, v3
	s_cbranch_vccz .LBB6_14
; %bb.13:
	s_mov_b64 s[14:15], -1
	v_pk_mov_b32 v[0:1], 0, 0
	s_and_b64 exec, exec, s[14:15]
	s_cbranch_execnz .LBB6_31
	s_branch .LBB6_39
.LBB6_14:
	v_ashrrev_i32_e32 v0, 31, v5
	v_lshrrev_b32_e32 v0, 21, v0
	v_add_co_u32_e32 v0, vcc, v4, v0
	v_addc_co_u32_e32 v1, vcc, 0, v5, vcc
	v_ashrrev_i64 v[0:1], 11, v[0:1]
	v_ashrrev_i32_e32 v2, 31, v24
	v_sub_co_u32_e32 v8, vcc, v0, v24
	v_subb_co_u32_e32 v9, vcc, v1, v2, vcc
	s_mov_b64 s[14:15], 0
	v_cmp_lt_i64_e32 vcc, 0, v[8:9]
	s_and_saveexec_b64 s[10:11], vcc
	s_cbranch_execz .LBB6_18
; %bb.15:
	v_lshlrev_b32_e32 v2, 4, v20
	v_lshl_add_u32 v6, v24, 11, v2
	v_ashrrev_i32_e32 v2, 31, v22
	v_lshrrev_b32_e32 v2, 26, v2
	v_add_u32_e32 v2, v22, v2
	v_ashrrev_i32_e32 v2, 6, v2
	v_mov_b32_e32 v3, 0xfffff800
	v_lshl_add_u32 v14, v2, 11, v3
	v_ashrrev_i32_e32 v15, 31, v14
	v_add_co_u32_e32 v14, vcc, 0x800, v14
	v_accvgpr_read_b32 v17, a1
	v_addc_co_u32_e32 v15, vcc, 0, v15, vcc
	v_accvgpr_read_b32 v16, a0
	v_ashrrev_i32_e32 v7, 31, v6
	v_add_co_u32_e32 v6, vcc, v16, v6
	v_ashrrev_i32_e32 v3, 31, v2
	v_addc_co_u32_e32 v7, vcc, v17, v7, vcc
.LBB6_16:                               ; =>This Inner Loop Header: Depth=1
	v_add_co_u32_e32 v16, vcc, v12, v6
	v_addc_co_u32_e32 v17, vcc, v13, v7, vcc
	global_load_dwordx4 v[24:27], v[16:17], off glc slc
	global_load_dwordx4 v[28:31], v[16:17], off offset:1024 glc slc
	v_add_co_u32_e32 v16, vcc, v10, v6
	v_addc_co_u32_e32 v17, vcc, v11, v7, vcc
	v_sub_co_u32_e32 v8, vcc, v8, v2
	v_subb_co_u32_e32 v9, vcc, v9, v3, vcc
	v_add_co_u32_e32 v6, vcc, v6, v14
	v_addc_co_u32_e32 v7, vcc, v7, v15, vcc
	v_cmp_gt_i64_e32 vcc, 1, v[8:9]
	s_or_b64 s[14:15], vcc, s[14:15]
	s_waitcnt vmcnt(1)
	global_store_dwordx4 v[16:17], v[24:27], off glc slc
	s_waitcnt vmcnt(1)
	global_store_dwordx4 v[16:17], v[28:31], off offset:1024 glc slc
	s_andn2_b64 exec, exec, s[14:15]
	s_cbranch_execnz .LBB6_16
; %bb.17:
	s_or_b64 exec, exec, s[14:15]
.LBB6_18:
	s_or_b64 exec, exec, s[10:11]
	v_lshlrev_b64 v[14:15], 11, v[0:1]
	v_cmp_ne_u64_e32 vcc, v[4:5], v[14:15]
	s_mov_b64 s[14:15], 0
	v_pk_mov_b32 v[0:1], 0, 0
                                        ; implicit-def: $vgpr23
                                        ; implicit-def: $vgpr24
	s_and_saveexec_b64 s[10:11], vcc
	s_cbranch_execz .LBB6_30
; %bb.19:
	v_sub_co_u32_e32 v9, vcc, v4, v14
	v_subb_co_u32_e32 v5, vcc, v5, v15, vcc
	v_ashrrev_i32_e32 v0, 31, v5
	v_lshrrev_b32_e32 v0, 22, v0
	v_add_co_u32_e32 v2, vcc, v9, v0
	v_addc_co_u32_e32 v3, vcc, 0, v5, vcc
	v_and_b32_e32 v0, 0xfffffc00, v2
	v_add_co_u32_e32 v6, vcc, v0, v14
	v_addc_co_u32_e32 v7, vcc, v3, v15, vcc
	v_ashrrev_i64 v[16:17], 10, v[2:3]
	v_sub_co_u32_e32 v2, vcc, v9, v0
	v_subb_co_u32_e32 v3, vcc, v5, v3, vcc
	v_mov_b32_e32 v1, 0
	v_cmp_lt_i64_e32 vcc, 15, v[2:3]
	s_and_saveexec_b64 s[14:15], vcc
; %bb.20:
	v_add_co_u32_e32 v16, vcc, 1, v16
	v_addc_co_u32_e32 v17, vcc, 0, v17, vcc
	v_and_b32_e32 v0, 15, v4
	v_sub_co_u32_e32 v2, vcc, v2, v0
	v_subbrev_co_u32_e32 v3, vcc, 0, v3, vcc
	v_add_co_u32_e32 v6, vcc, v2, v6
	v_addc_co_u32_e32 v7, vcc, v3, v7, vcc
	v_pk_mov_b32 v[2:3], v[0:1], v[0:1] op_sel:[0,1]
; %bb.21:
	s_or_b64 exec, exec, s[14:15]
	v_lshlrev_b32_e32 v0, 6, v8
	v_sub_u32_e32 v0, v20, v0
	v_ashrrev_i32_e32 v1, 31, v0
	v_lshrrev_b32_e32 v1, 26, v1
	v_add_u32_e32 v1, v0, v1
	v_ashrrev_i32_e32 v4, 6, v1
	v_and_b32_e32 v1, 0xffffffc0, v1
	v_sub_u32_e32 v25, v0, v1
	v_lshlrev_b32_e32 v0, 4, v25
	v_lshl_add_u32 v20, v4, 10, v0
	v_ashrrev_i32_e32 v21, 31, v20
	v_sub_co_u32_e32 v0, vcc, v9, v20
	v_subb_co_u32_e32 v1, vcc, v5, v21, vcc
	v_ashrrev_i32_e32 v5, 31, v4
	v_sub_co_u32_e32 v4, vcc, v16, v4
	v_subb_co_u32_e32 v5, vcc, v17, v5, vcc
	v_cmp_lt_i64_e32 vcc, 15, v[0:1]
	s_and_saveexec_b64 s[14:15], vcc
	s_cbranch_execz .LBB6_25
; %bb.22:
	v_ashrrev_i32_e32 v8, 31, v22
	v_lshrrev_b32_e32 v8, 26, v8
	v_add_u32_e32 v8, v22, v8
	v_ashrrev_i32_e32 v8, 6, v8
	v_lshlrev_b32_e32 v16, 10, v8
	v_add_u32_e32 v9, 0xfffffc00, v16
	v_ashrrev_i32_e32 v17, 31, v9
	v_add_co_u32_e32 v23, vcc, 0x400, v9
	v_accvgpr_read_b32 v19, a1
	v_addc_co_u32_e32 v24, vcc, 0, v17, vcc
	v_accvgpr_read_b32 v18, a0
	v_add_co_u32_e32 v14, vcc, v18, v14
	v_addc_co_u32_e32 v15, vcc, v19, v15, vcc
	v_add_co_u32_e32 v14, vcc, v14, v20
	v_ashrrev_i32_e32 v9, 31, v16
	v_ashrrev_i32_e32 v17, 31, v8
	v_addc_co_u32_e32 v15, vcc, v15, v21, vcc
	s_mov_b64 s[16:17], 0
.LBB6_23:                               ; =>This Inner Loop Header: Depth=1
	v_add_co_u32_e32 v18, vcc, v12, v14
	v_addc_co_u32_e32 v19, vcc, v13, v15, vcc
	global_load_dwordx4 v[26:29], v[18:19], off glc slc
	v_add_co_u32_e32 v18, vcc, v10, v14
	v_addc_co_u32_e32 v19, vcc, v11, v15, vcc
	v_sub_co_u32_e32 v0, vcc, v0, v16
	v_subb_co_u32_e32 v1, vcc, v1, v9, vcc
	v_sub_co_u32_e32 v4, vcc, v4, v8
	v_subb_co_u32_e32 v5, vcc, v5, v17, vcc
	v_add_co_u32_e32 v14, vcc, v14, v23
	v_addc_co_u32_e32 v15, vcc, v15, v24, vcc
	v_cmp_gt_i64_e32 vcc, 16, v[0:1]
	s_or_b64 s[16:17], vcc, s[16:17]
	s_waitcnt vmcnt(0)
	global_store_dwordx4 v[18:19], v[26:29], off glc slc
	s_andn2_b64 exec, exec, s[16:17]
	s_cbranch_execnz .LBB6_23
; %bb.24:
	s_or_b64 exec, exec, s[16:17]
.LBB6_25:
	s_or_b64 exec, exec, s[14:15]
	s_mov_b64 s[14:15], 0
	v_cmp_lt_i64_e32 vcc, 0, v[4:5]
	s_and_saveexec_b64 s[16:17], vcc
; %bb.26:
	v_ashrrev_i32_e32 v0, 31, v22
	v_lshrrev_b32_e32 v0, 26, v0
	v_add_u32_e32 v0, v22, v0
	v_ashrrev_i32_e32 v0, 6, v0
	v_sub_co_u32_e32 v4, vcc, v4, v0
; %bb.27:
	s_or_b64 exec, exec, s[16:17]
	v_cmp_ne_u64_e32 vcc, 0, v[2:3]
	v_pk_mov_b32 v[0:1], 0, 0
                                        ; implicit-def: $vgpr23
                                        ; implicit-def: $vgpr24
	s_and_saveexec_b64 s[16:17], vcc
; %bb.28:
	v_lshlrev_b32_e32 v0, 6, v4
	v_sub_u32_e32 v23, v25, v0
	v_ashrrev_i32_e32 v0, 31, v23
	v_lshrrev_b32_e32 v0, 26, v0
	v_add_u32_e32 v0, v23, v0
	s_mov_b64 s[14:15], exec
	v_ashrrev_i32_e32 v24, 6, v0
	v_pk_mov_b32 v[0:1], v[6:7], v[6:7] op_sel:[0,1]
; %bb.29:
	s_or_b64 exec, exec, s[16:17]
	s_and_b64 s[14:15], s[14:15], exec
	v_pk_mov_b32 v[4:5], v[2:3], v[2:3] op_sel:[0,1]
.LBB6_30:
	s_or_b64 exec, exec, s[10:11]
	s_and_b64 exec, exec, s[14:15]
	s_cbranch_execz .LBB6_39
.LBB6_31:
	v_ashrrev_i32_e32 v2, 31, v5
	v_lshrrev_b32_e32 v2, 22, v2
	v_add_co_u32_e32 v2, vcc, v4, v2
	v_addc_co_u32_e32 v3, vcc, 0, v5, vcc
	v_ashrrev_i64 v[6:7], 10, v[2:3]
	v_ashrrev_i32_e32 v3, 31, v24
	v_sub_co_u32_e32 v2, vcc, v6, v24
	v_subb_co_u32_e32 v3, vcc, v7, v3, vcc
	s_mov_b64 s[14:15], 0
	v_cmp_lt_i64_e32 vcc, 0, v[2:3]
	s_and_saveexec_b64 s[10:11], vcc
	s_cbranch_execz .LBB6_35
; %bb.32:
	v_ashrrev_i32_e32 v14, 31, v22
	v_lshrrev_b32_e32 v14, 26, v14
	v_add_u32_e32 v14, v22, v14
	v_ashrrev_i32_e32 v14, 6, v14
	v_mov_b32_e32 v15, 0xfffffc00
	v_lshl_add_u32 v16, v14, 10, v15
	s_movk_i32 s13, 0x400
	v_ashrrev_i32_e32 v17, 31, v16
	v_add_co_u32_e32 v25, vcc, s13, v16
	v_addc_co_u32_e32 v26, vcc, 0, v17, vcc
	v_accvgpr_read_b32 v17, a1
	v_ashrrev_i32_e32 v8, 31, v23
	v_accvgpr_read_b32 v16, a0
	v_lshrrev_b32_e32 v8, 26, v8
	v_add_co_u32_e32 v18, vcc, v16, v0
	v_add_u32_e32 v8, v23, v8
	v_addc_co_u32_e32 v19, vcc, v17, v1, vcc
	v_and_b32_e32 v8, 0xffffffc0, v8
	v_add_co_u32_e32 v16, vcc, v18, v12
	v_sub_u32_e32 v8, v23, v8
	v_addc_co_u32_e32 v17, vcc, v19, v13, vcc
	v_lshl_add_u32 v8, v24, 10, v8
	v_add_co_u32_e32 v20, vcc, v18, v10
	v_ashrrev_i32_e32 v9, 31, v8
	v_ashrrev_i32_e32 v15, 31, v14
	v_addc_co_u32_e32 v21, vcc, v19, v11, vcc
.LBB6_33:                               ; =>This Inner Loop Header: Depth=1
	v_add_co_u32_e32 v18, vcc, v8, v16
	v_addc_co_u32_e32 v19, vcc, v9, v17, vcc
	flat_load_ubyte v27, v[18:19] glc slc
	flat_load_ubyte v28, v[18:19] offset:64 glc slc
	flat_load_ubyte v29, v[18:19] offset:128 glc slc
	flat_load_ubyte v30, v[18:19] offset:192 glc slc
	flat_load_ubyte v31, v[18:19] offset:256 glc slc
	flat_load_ubyte v32, v[18:19] offset:320 glc slc
	flat_load_ubyte v33, v[18:19] offset:384 glc slc
	flat_load_ubyte v34, v[18:19] offset:448 glc slc
	flat_load_ubyte v35, v[18:19] offset:512 glc slc
	flat_load_ubyte v36, v[18:19] offset:576 glc slc
	flat_load_ubyte v37, v[18:19] offset:640 glc slc
	flat_load_ubyte v38, v[18:19] offset:704 glc slc
	flat_load_ubyte v39, v[18:19] offset:768 glc slc
	flat_load_ubyte v48, v[18:19] offset:832 glc slc
	flat_load_ubyte v49, v[18:19] offset:896 glc slc
	flat_load_ubyte v50, v[18:19] offset:960 glc slc
	v_add_co_u32_e32 v18, vcc, v8, v20
	v_addc_co_u32_e32 v19, vcc, v9, v21, vcc
	v_sub_co_u32_e32 v2, vcc, v2, v14
	v_subb_co_u32_e32 v3, vcc, v3, v15, vcc
	v_add_co_u32_e32 v16, vcc, v16, v25
	v_addc_co_u32_e32 v17, vcc, v17, v26, vcc
	v_add_co_u32_e32 v20, vcc, v20, v25
	v_addc_co_u32_e32 v21, vcc, v21, v26, vcc
	v_cmp_gt_i64_e32 vcc, 1, v[2:3]
	s_or_b64 s[14:15], vcc, s[14:15]
	s_waitcnt vmcnt(0) lgkmcnt(0)
	flat_store_byte v[18:19], v27 glc slc
	flat_store_byte v[18:19], v28 offset:64 glc slc
	flat_store_byte v[18:19], v29 offset:128 glc slc
	;; [unrolled: 1-line block ×15, first 2 shown]
	s_andn2_b64 exec, exec, s[14:15]
	s_cbranch_execnz .LBB6_33
; %bb.34:
	s_or_b64 exec, exec, s[14:15]
.LBB6_35:
	s_or_b64 exec, exec, s[10:11]
	v_lshlrev_b64 v[6:7], 10, v[6:7]
	v_cmp_ne_u64_e32 vcc, v[4:5], v[6:7]
	s_and_b64 exec, exec, vcc
	s_cbranch_execz .LBB6_39
; %bb.36:
	v_lshlrev_b32_e32 v3, 6, v24
	v_sub_u32_e32 v3, v23, v3
	v_lshlrev_b32_e32 v2, 6, v2
	v_sub_u32_e32 v8, v3, v2
	v_ashrrev_i32_e32 v9, 31, v8
	v_add_co_u32_e32 v2, vcc, v6, v8
	v_addc_co_u32_e32 v3, vcc, v7, v9, vcc
	v_sub_co_u32_e32 v2, vcc, v4, v2
	v_subb_co_u32_e32 v3, vcc, v5, v3, vcc
	s_mov_b64 s[10:11], 0
	v_cmp_lt_i64_e32 vcc, 0, v[2:3]
	s_and_b64 exec, exec, vcc
	s_cbranch_execz .LBB6_39
; %bb.37:
	v_ashrrev_i32_e32 v4, 31, v22
	v_lshrrev_b32_e32 v4, 26, v4
	v_add_u32_e32 v4, v22, v4
	v_and_b32_e32 v4, 0xffffffc0, v4
	v_subrev_u32_e32 v5, 64, v4
	v_ashrrev_i32_e32 v15, 31, v5
	v_add_co_u32_e32 v14, vcc, 64, v5
	v_accvgpr_read_b32 v17, a1
	v_addc_co_u32_e32 v15, vcc, 0, v15, vcc
	v_accvgpr_read_b32 v16, a0
	v_add_co_u32_e32 v0, vcc, v16, v0
	v_addc_co_u32_e32 v1, vcc, v17, v1, vcc
	v_add_co_u32_e32 v0, vcc, v0, v6
	v_addc_co_u32_e32 v1, vcc, v1, v7, vcc
	v_add_co_u32_e32 v0, vcc, v0, v8
	v_ashrrev_i32_e32 v5, 31, v4
	v_addc_co_u32_e32 v1, vcc, v1, v9, vcc
.LBB6_38:                               ; =>This Inner Loop Header: Depth=1
	v_add_co_u32_e32 v6, vcc, v12, v0
	v_addc_co_u32_e32 v7, vcc, v13, v1, vcc
	flat_load_ubyte v8, v[6:7] glc slc
	v_add_co_u32_e32 v6, vcc, v10, v0
	v_addc_co_u32_e32 v7, vcc, v11, v1, vcc
	v_sub_co_u32_e32 v2, vcc, v2, v4
	v_subb_co_u32_e32 v3, vcc, v3, v5, vcc
	v_add_co_u32_e32 v0, vcc, v0, v14
	v_addc_co_u32_e32 v1, vcc, v1, v15, vcc
	v_cmp_gt_i64_e32 vcc, 1, v[2:3]
	s_or_b64 s[10:11], vcc, s[10:11]
	s_waitcnt vmcnt(0) lgkmcnt(0)
	flat_store_byte v[6:7], v8 glc slc
	s_andn2_b64 exec, exec, s[10:11]
	s_cbranch_execnz .LBB6_38
.LBB6_39:
	s_or_b64 exec, exec, s[4:5]
                                        ; implicit-def: $vgpr14_vgpr15
                                        ; implicit-def: $agpr0_agpr1
                                        ; implicit-def: $vgpr4_vgpr5
                                        ; implicit-def: $vgpr16_vgpr17
                                        ; implicit-def: $vgpr3
                                        ; implicit-def: $vgpr2
                                        ; implicit-def: $vgpr22
                                        ; implicit-def: $vgpr31
                                        ; implicit-def: $vgpr12_vgpr13
                                        ; implicit-def: $vgpr8_vgpr9
.LBB6_40:
	s_andn2_saveexec_b64 s[22:23], s[6:7]
	s_cbranch_execz .LBB6_348
; %bb.41:
	s_load_dword s4, s[8:9], 0x0
	v_mov_b32_e32 v1, 0
	v_lshrrev_b64 v[6:7], 31, v[8:9]
	v_ashrrev_i32_e32 v23, 31, v22
	v_and_b32_e32 v9, 3, v6
	s_waitcnt lgkmcnt(0)
	s_cmp_lt_u32 s12, s4
	s_cselect_b32 s4, 12, 18
	s_add_u32 s4, s8, s4
	s_addc_u32 s5, s9, 0
	global_load_ushort v17, v1, s[4:5]
	s_trap 2
	ds_read_b32 v0, v0
	v_lshrrev_b32_e32 v6, 26, v23
	v_add_u32_e32 v6, v22, v6
	v_and_b32_e32 v6, 0xffffffc0, v6
	v_sub_u32_e32 v8, v22, v6
	s_waitcnt lgkmcnt(0)
	v_cmp_gt_i32_e32 vcc, 0, v0
	s_mov_b32 s6, 0
	v_pk_mov_b32 v[18:19], 0, 0
	v_cmp_eq_u32_e64 s[4:5], 0, v8
	s_cbranch_vccnz .LBB6_43
; %bb.42:
	s_trap 2
	ds_read_b64 v[6:7], v0
	v_lshlrev_b64 v[20:21], 3, v[0:1]
	v_and_b32_e32 v1, 0xffff, v9
	s_movk_i32 s6, 0xa8
	s_waitcnt lgkmcnt(0)
	v_add_co_u32_e32 v6, vcc, v6, v20
	v_addc_co_u32_e32 v7, vcc, v7, v21, vcc
	flat_load_dwordx2 v[6:7], v[6:7]
	s_waitcnt vmcnt(0) lgkmcnt(0)
	v_mad_u64_u32 v[6:7], s[6:7], v1, s6, v[6:7]
	flat_load_dwordx2 a[8:9], v[6:7] offset:504
	flat_load_dwordx2 v[26:27], v[6:7] offset:608
	v_add_co_u32_e32 v1, vcc, 0x1f8, v6
	v_addc_co_u32_e32 v6, vcc, 0, v7, vcc
	v_cndmask_b32_e64 v25, 0, v6, s[4:5]
	v_cndmask_b32_e64 v24, 0, v1, s[4:5]
	s_mov_b32 s6, 1
	s_branch .LBB6_44
.LBB6_43:
	v_pk_mov_b32 v[24:25], v[18:19], v[18:19] op_sel:[0,1]
                                        ; implicit-def: $vgpr26_vgpr27
                                        ; implicit-def: $agpr8_agpr9
.LBB6_44:
	s_trap 2
	ds_read_b32 v6, v0
	s_waitcnt lgkmcnt(0)
	v_cmp_gt_i32_e32 vcc, 0, v6
	s_cbranch_vccnz .LBB6_46
; %bb.45:
	s_trap 2
	ds_read_b64 v[20:21], v0
	v_mov_b32_e32 v7, 0
	v_lshlrev_b64 v[6:7], 3, v[6:7]
	v_and_b32_e32 v1, 0xffff, v9
	s_movk_i32 s4, 0xa8
	s_waitcnt lgkmcnt(0)
	v_add_co_u32_e32 v6, vcc, v20, v6
	v_addc_co_u32_e32 v7, vcc, v21, v7, vcc
	flat_load_dwordx2 v[6:7], v[6:7]
	v_cmp_eq_u32_e32 vcc, 0, v8
	s_waitcnt vmcnt(0) lgkmcnt(0)
	v_mad_u64_u32 v[6:7], s[4:5], v1, s4, v[6:7]
	flat_load_dwordx2 a[10:11], v[6:7]
	flat_load_dwordx2 v[32:33], v[6:7] offset:104
	v_cndmask_b32_e32 v19, 0, v7, vcc
	v_cndmask_b32_e32 v18, 0, v6, vcc
	s_branch .LBB6_47
.LBB6_46:
                                        ; implicit-def: $vgpr32_vgpr33
                                        ; implicit-def: $agpr10_agpr11
.LBB6_47:
	v_subrev_u32_e32 v1, 64, v2
	v_pk_mov_b32 v[6:7], 0, 0
	v_cmp_le_i32_e32 vcc, v1, v22
	v_cmp_gt_i32_e64 s[4:5], s6, v8
	v_accvgpr_write_b32 a13, v7
	s_and_b64 s[24:25], vcc, s[4:5]
	v_accvgpr_write_b32 a12, v6
                                        ; implicit-def: $vgpr34_vgpr35
	s_and_saveexec_b64 s[4:5], s[24:25]
	s_cbranch_execz .LBB6_49
; %bb.48:
	flat_load_dwordx2 a[12:13], v[24:25] offset:56
	flat_load_dwordx2 v[34:35], v[24:25] offset:104
.LBB6_49:
	s_or_b64 exec, exec, s[4:5]
	v_cmp_gt_i32_e64 s[4:5], s6, v22
	v_pk_mov_b32 v[38:39], v[6:7], v[6:7] op_sel:[0,1]
                                        ; implicit-def: $vgpr48_vgpr49
	s_and_saveexec_b64 s[6:7], s[4:5]
	s_cbranch_execz .LBB6_51
; %bb.50:
	flat_load_dwordx2 v[38:39], v[18:19] offset:56
	s_waitcnt vmcnt(0) lgkmcnt(0)
	flat_load_dwordx2 v[48:49], v[38:39] glc
	s_waitcnt vmcnt(0)
	flat_load_dwordx4 v[6:9], v[18:19] offset:96
.LBB6_51:
	s_or_b64 exec, exec, s[6:7]
	s_waitcnt vmcnt(0)
	v_cmp_ne_u64_e32 vcc, 0, v[4:5]
	v_pk_mov_b32 v[40:41], 0, 0
	s_and_saveexec_b64 s[26:27], vcc
	s_cbranch_execnz .LBB6_55
; %bb.52:
	s_or_b64 exec, exec, s[26:27]
	s_and_saveexec_b64 s[6:7], s[24:25]
	s_cbranch_execnz .LBB6_328
.LBB6_53:
	s_or_b64 exec, exec, s[6:7]
	s_and_saveexec_b64 s[6:7], s[4:5]
	s_cbranch_execnz .LBB6_329
.LBB6_54:
	s_or_b64 exec, exec, s[6:7]
	v_cmp_ne_u32_e32 vcc, 64, v2
	s_and_saveexec_b64 s[4:5], vcc
	s_cbranch_execnz .LBB6_330
	s_branch .LBB6_347
.LBB6_55:
	v_ashrrev_i32_e32 v1, 31, v0
	v_lshrrev_b32_e32 v1, 29, v1
	v_add_u32_e32 v0, v0, v1
	v_ashrrev_i32_e32 v62, 7, v0
	v_lshlrev_b32_e32 v0, 4, v16
	v_and_b32_e32 v30, 0x1fffff0, v0
	v_cvt_f64_u32_e32 v[0:1], 0
	v_accvgpr_write_b32 a4, v18
	v_ldexp_f64 v[0:1], v[0:1], 32
	v_cvt_f64_u32_e32 v[20:21], v30
	v_accvgpr_write_b32 a5, v19
	v_add_f64 v[18:19], v[0:1], v[20:21]
	v_cmp_ne_u32_e64 s[6:7], v14, v3
	v_cmp_ne_u32_e64 s[8:9], v15, v3
	v_and_b32_e32 v0, 63, v31
	v_ashrrev_i32_e32 v3, 31, v2
	v_cmp_eq_u32_e64 s[16:17], 0, v0
	v_lshrrev_b32_e32 v0, 26, v3
	v_add_u32_e32 v0, v2, v0
	v_ashrrev_i32_e32 v0, 6, v0
	v_lshlrev_b32_e32 v42, 3, v22
	v_accvgpr_write_b32 a16, v0
	v_ashrrev_i32_e32 v1, 31, v0
	v_ashrrev_i32_e32 v43, 31, v42
	v_add_co_u32_e32 v0, vcc, v10, v42
	v_accvgpr_write_b32 a18, v0
	v_addc_co_u32_e32 v0, vcc, v11, v43, vcc
	v_accvgpr_read_b32 v15, a1
	v_cmp_ne_u64_e32 vcc, v[12:13], v[10:11]
	s_xor_b64 s[20:21], s[20:21], -1
	v_accvgpr_read_b32 v14, a0
	s_and_b64 s[34:35], s[20:21], vcc
	v_add_co_u32_e32 v56, vcc, v14, v12
	v_addc_co_u32_e32 v57, vcc, v15, v13, vcc
	v_accvgpr_write_b32 a17, v1
	v_accvgpr_write_b32 a19, v0
	s_waitcnt lgkmcnt(0)
	v_accvgpr_read_b32 v0, a12
	v_add_co_u32_e32 v58, vcc, v56, v42
	v_accvgpr_read_b32 v1, a13
	v_addc_co_u32_e32 v59, vcc, v57, v43, vcc
	v_cmp_ne_u64_e64 s[18:19], 0, v[0:1]
	v_and_b32_e32 v0, 0x1fffff, v16
	v_add_co_u32_e32 v60, vcc, v10, v14
	v_lshlrev_b32_e32 v29, 7, v0
	v_addc_co_u32_e32 v61, vcc, v11, v15, vcc
	v_lshlrev_b64 v[0:1], 4, v[22:23]
	v_accvgpr_read_b32 v10, a10
	v_accvgpr_read_b32 v11, a11
	v_add_co_u32_e32 v0, vcc, v10, v0
	v_accvgpr_write_b32 a6, v24
	v_lshlrev_b32_e32 v44, 3, v2
	v_accvgpr_write_b32 a21, v0
	v_addc_co_u32_e32 v0, vcc, v11, v1, vcc
	v_pk_mov_b32 v[50:51], 0, 0
	v_accvgpr_write_b32 a14, v18
	v_accvgpr_write_b32 a7, v25
	v_mov_b32_e32 v53, 0
	s_mov_b64 s[28:29], 0
	v_cmp_ne_u64_e64 s[10:11], 0, v[38:39]
	v_cmp_ne_u64_e64 s[12:13], 0, v[6:7]
	v_cmp_ne_u32_e64 s[14:15], 64, v2
	v_accvgpr_write_b32 a3, v17
	v_cmp_ne_u32_sdwa s[30:31], v2, v17 src0_sel:DWORD src1_sel:WORD_0
	v_accvgpr_write_b32 a2, v31
	v_ashrrev_i32_e32 v45, 31, v44
	v_lshlrev_b64 v[46:47], 4, v[2:3]
	v_lshlrev_b32_e32 v3, 3, v58
	v_lshlrev_b32_e32 v24, 6, v2
	v_accvgpr_write_b32 a22, v0
	s_movk_i32 s58, 0x2710
	s_mov_b64 s[36:37], 0x7ffffff8
	v_mov_b32_e32 v23, 0
	v_pk_mov_b32 v[40:41], v[50:51], v[50:51] op_sel:[0,1]
	v_accvgpr_write_b32 a15, v19
	v_accvgpr_write_b32 a20, v29
	s_branch .LBB6_59
.LBB6_56:                               ;   in Loop: Header=BB6_59 Depth=1
	s_or_b64 exec, exec, s[42:43]
	v_add_co_u32_e32 v32, vcc, 1, v32
	v_addc_co_u32_e32 v33, vcc, 0, v33, vcc
.LBB6_57:                               ;   in Loop: Header=BB6_59 Depth=1
	s_or_b64 exec, exec, s[40:41]
.LBB6_58:                               ;   in Loop: Header=BB6_59 Depth=1
	s_or_b64 exec, exec, s[38:39]
	v_add_co_u32_e32 v50, vcc, v50, v30
	v_addc_co_u32_e32 v51, vcc, 0, v51, vcc
	v_add_co_u32_e32 v56, vcc, v56, v30
	v_addc_co_u32_e32 v57, vcc, 0, v57, vcc
	;; [unrolled: 2-line block ×3, first 2 shown]
	v_cmp_ge_u64_e32 vcc, v[50:51], v[4:5]
	s_or_b64 s[28:29], vcc, s[28:29]
	v_add_co_u32_e32 v58, vcc, v58, v30
	v_add_u32_e32 v3, v3, v29
	v_addc_co_u32_e32 v59, vcc, 0, v59, vcc
	s_andn2_b64 exec, exec, s[28:29]
	s_cbranch_execz .LBB6_327
.LBB6_59:                               ; =>This Loop Header: Depth=1
                                        ;     Child Loop BB6_68 Depth 2
                                        ;     Child Loop BB6_85 Depth 2
	;; [unrolled: 1-line block ×3, first 2 shown]
                                        ;       Child Loop BB6_130 Depth 3
                                        ;     Child Loop BB6_196 Depth 2
                                        ;     Child Loop BB6_102 Depth 2
	;; [unrolled: 1-line block ×3, first 2 shown]
                                        ;       Child Loop BB6_162 Depth 3
                                        ;     Child Loop BB6_208 Depth 2
                                        ;     Child Loop BB6_120 Depth 2
	;; [unrolled: 1-line block ×9, first 2 shown]
	v_sub_co_u32_e32 v10, vcc, v4, v50
	v_subb_co_u32_e32 v0, vcc, v5, v51, vcc
	v_cvt_f64_u32_e32 v[0:1], v0
	v_ldexp_f64 v[0:1], v[0:1], 32
	v_cvt_f64_u32_e32 v[10:11], v10
	v_add_f64 v[0:1], v[0:1], v[10:11]
	v_max_f64 v[10:11], v[18:19], v[18:19]
	v_min_f64 v[0:1], v[10:11], v[0:1]
	v_cvt_i32_f64_e32 v0, v[0:1]
	v_max_i32_e32 v10, 0, v0
	s_and_saveexec_b64 s[20:21], s[6:7]
	s_xor_b64 s[38:39], exec, s[20:21]
	s_cbranch_execz .LBB6_110
; %bb.60:                               ;   in Loop: Header=BB6_59 Depth=1
	v_accvgpr_read_b32 v0, a0
	v_accvgpr_read_b32 v1, a1
	v_add_co_u32_e32 v11, vcc, v50, v0
	v_addc_co_u32_e32 v12, vcc, v51, v1, vcc
	s_and_saveexec_b64 s[20:21], s[8:9]
	s_xor_b64 s[40:41], exec, s[20:21]
	s_cbranch_execz .LBB6_104
; %bb.61:                               ;   in Loop: Header=BB6_59 Depth=1
	s_and_saveexec_b64 s[20:21], s[10:11]
	s_cbranch_execz .LBB6_77
; %bb.62:                               ;   in Loop: Header=BB6_59 Depth=1
	v_add_co_u32_e32 v0, vcc, 1, v8
	v_addc_co_u32_e32 v1, vcc, 0, v9, vcc
	s_waitcnt vmcnt(0) lgkmcnt(0)
	v_add_co_u32_e32 v14, vcc, 8, v48
	v_addc_co_u32_e32 v15, vcc, 0, v49, vcc
	v_cmp_lt_u64_e32 vcc, v[14:15], v[0:1]
	s_and_saveexec_b64 s[42:43], vcc
	s_cbranch_execz .LBB6_74
; %bb.63:                               ;   in Loop: Header=BB6_59 Depth=1
	s_sleep 1
	flat_load_dwordx2 v[48:49], v[38:39] glc
	v_cmp_eq_u32_e32 vcc, 0, v23
	s_and_saveexec_b64 s[44:45], vcc
	s_cbranch_execz .LBB6_73
; %bb.64:                               ;   in Loop: Header=BB6_59 Depth=1
	v_cndmask_b32_e64 v9, 0, 1, vcc
	s_mov_b64 s[46:47], 0
                                        ; implicit-def: $sgpr48_sgpr49
	s_branch .LBB6_68
.LBB6_65:                               ;   in Loop: Header=BB6_68 Depth=2
	s_or_b64 exec, exec, s[56:57]
	s_orn2_b64 s[54:55], s[54:55], exec
.LBB6_66:                               ;   in Loop: Header=BB6_68 Depth=2
	s_or_b64 exec, exec, s[52:53]
	s_xor_b64 vcc, s[54:55], -1
	s_andn2_b64 s[48:49], s[48:49], exec
	s_and_b64 vcc, vcc, exec
	s_or_b64 s[48:49], s[48:49], vcc
.LBB6_67:                               ;   in Loop: Header=BB6_68 Depth=2
	s_or_b64 exec, exec, s[50:51]
	s_and_b64 vcc, exec, s[48:49]
	s_or_b64 s[46:47], vcc, s[46:47]
	s_andn2_b64 exec, exec, s[46:47]
	s_cbranch_execz .LBB6_72
.LBB6_68:                               ;   Parent Loop BB6_59 Depth=1
                                        ; =>  This Inner Loop Header: Depth=2
	s_waitcnt vmcnt(0) lgkmcnt(0)
	v_add_co_u32_e32 v14, vcc, 8, v48
	v_addc_co_u32_e32 v15, vcc, 0, v49, vcc
	v_cmp_lt_u64_e32 vcc, v[14:15], v[0:1]
	v_mov_b32_e32 v23, 0
	s_or_b64 s[48:49], s[48:49], exec
	s_and_saveexec_b64 s[50:51], vcc
	s_cbranch_execz .LBB6_67
; %bb.69:                               ;   in Loop: Header=BB6_68 Depth=2
	s_sleep 1
	flat_load_dwordx2 v[48:49], v[38:39] glc
	v_add_u32_e32 v9, 1, v9
	v_cmp_eq_u32_e32 vcc, s58, v9
	s_mov_b64 s[54:55], -1
	v_mov_b32_e32 v23, 0
	s_and_saveexec_b64 s[52:53], vcc
	s_cbranch_execz .LBB6_66
; %bb.70:                               ;   in Loop: Header=BB6_68 Depth=2
	s_trap 2
	ds_read_b64 v[14:15], v0
	v_mov_b32_e32 v9, 0
	v_mov_b32_e32 v23, 0
	s_waitcnt vmcnt(0) lgkmcnt(0)
	flat_load_dword v13, v[14:15] glc
	s_waitcnt vmcnt(0) lgkmcnt(0)
	buffer_invl2
	buffer_wbinvl1_vol
	v_cmp_ne_u32_e32 vcc, 0, v13
	s_and_saveexec_b64 s[56:57], vcc
	s_cbranch_execz .LBB6_65
; %bb.71:                               ;   in Loop: Header=BB6_68 Depth=2
	v_mov_b32_e32 v23, 1
	s_xor_b64 s[54:55], exec, -1
	ds_write_b32 v0, v13
	s_trap 2
	s_branch .LBB6_65
.LBB6_72:                               ;   in Loop: Header=BB6_59 Depth=1
	s_or_b64 exec, exec, s[46:47]
.LBB6_73:                               ;   in Loop: Header=BB6_59 Depth=1
	s_or_b64 exec, exec, s[44:45]
.LBB6_74:                               ;   in Loop: Header=BB6_59 Depth=1
	s_or_b64 exec, exec, s[42:43]
	s_and_saveexec_b64 s[42:43], s[12:13]
	s_cbranch_execz .LBB6_76
; %bb.75:                               ;   in Loop: Header=BB6_59 Depth=1
	v_add_u32_e32 v9, 7, v10
	v_ashrrev_i32_e32 v13, 31, v9
	v_lshrrev_b32_e32 v13, 29, v13
	v_add_u32_e32 v9, v9, v13
	v_and_b32_e32 v52, 0x7ffffff8, v8
	v_lshrrev_b32_e32 v9, 3, v9
	v_cmp_eq_u64_e32 vcc, s[36:37], v[52:53]
	v_cndmask_b32_e32 v9, v9, v62, vcc
	v_lshlrev_b32_e32 v14, 4, v9
	v_and_b32_e32 v8, 7, v8
	v_ashrrev_i32_e32 v15, 31, v14
	v_mad_u64_u32 v[8:9], vcc, v8, 24, v[6:7]
	flat_store_dwordx2 v[8:9], v[14:15] offset:8
	s_waitcnt vmcnt(0)
.LBB6_76:                               ;   in Loop: Header=BB6_59 Depth=1
	s_or_b64 exec, exec, s[42:43]
	v_pk_mov_b32 v[8:9], v[0:1], v[0:1] op_sel:[0,1]
.LBB6_77:                               ;   in Loop: Header=BB6_59 Depth=1
	s_or_b64 exec, exec, s[20:21]
	s_and_saveexec_b64 s[20:21], s[14:15]
	s_cbranch_execz .LBB6_96
; %bb.78:                               ;   in Loop: Header=BB6_59 Depth=1
	s_and_saveexec_b64 vcc, s[30:31]
	s_xor_b64 s[42:43], exec, vcc
	s_cbranch_execz .LBB6_93
; %bb.79:                               ;   in Loop: Header=BB6_59 Depth=1
	s_and_saveexec_b64 s[44:45], s[16:17]
	s_cbranch_execz .LBB6_92
; %bb.80:                               ;   in Loop: Header=BB6_59 Depth=1
	s_mov_b64 s[48:49], exec
	v_mbcnt_lo_u32_b32 v0, s48, 0
	v_mbcnt_hi_u32_b32 v0, s49, v0
	v_cmp_eq_u32_e32 vcc, 0, v0
	s_waitcnt vmcnt(0) lgkmcnt(0)
	buffer_wbinvl1_vol
	s_and_saveexec_b64 s[46:47], vcc
	s_cbranch_execz .LBB6_82
; %bb.81:                               ;   in Loop: Header=BB6_59 Depth=1
	s_bcnt1_i32_b64 vcc_lo, s[48:49]
	v_mov_b32_e32 v52, vcc_lo
	ds_add_u64 v0, v[52:53]
	s_trap 2
.LBB6_82:                               ;   in Loop: Header=BB6_59 Depth=1
	s_or_b64 exec, exec, s[46:47]
	s_trap 2
	ds_read_b64 v[0:1], v0
	v_accvgpr_read_b32 v14, a16
	v_add_co_u32_e32 v40, vcc, v40, v14
	v_accvgpr_read_b32 v13, a17
	v_addc_co_u32_e32 v41, vcc, v41, v13, vcc
	s_waitcnt lgkmcnt(0)
	v_cmp_lt_u64_e32 vcc, v[0:1], v[40:41]
	s_and_saveexec_b64 s[46:47], vcc
	s_cbranch_execz .LBB6_91
; %bb.83:                               ;   in Loop: Header=BB6_59 Depth=1
	s_mov_b32 s59, 0
	s_mov_b64 s[48:49], 0
                                        ; implicit-def: $sgpr50_sgpr51
                                        ; implicit-def: $sgpr52_sgpr53
	s_branch .LBB6_85
.LBB6_84:                               ;   in Loop: Header=BB6_85 Depth=2
	s_or_b64 exec, exec, s[56:57]
	s_and_b64 vcc, exec, vcc
	s_or_b64 s[48:49], vcc, s[48:49]
	s_andn2_b64 vcc, s[50:51], exec
	s_and_b64 s[50:51], s[52:53], exec
	s_or_b64 s[50:51], vcc, s[50:51]
	s_andn2_b64 exec, exec, s[48:49]
	s_cbranch_execz .LBB6_89
.LBB6_85:                               ;   Parent Loop BB6_59 Depth=1
                                        ; =>  This Inner Loop Header: Depth=2
	s_add_i32 s59, s59, 1
	s_cmpk_lg_i32 s59, 0x2710
	s_cselect_b64 s[54:55], -1, 0
	s_and_b64 vcc, exec, s[54:55]
                                        ; implicit-def: $sgpr56_sgpr57
	s_cbranch_vccnz .LBB6_87
; %bb.86:                               ;   in Loop: Header=BB6_85 Depth=2
	s_trap 2
	ds_read_b64 v[0:1], v0
	s_andn2_b64 s[54:55], s[54:55], exec
	s_mov_b32 s59, 0
	s_mov_b64 s[56:57], -1
	s_waitcnt lgkmcnt(0)
	flat_load_dword v0, v[0:1] glc
	s_waitcnt vmcnt(0) lgkmcnt(0)
	buffer_invl2
	buffer_wbinvl1_vol
	v_cmp_eq_u32_e32 vcc, 0, v0
	s_and_b64 vcc, vcc, exec
	s_or_b64 s[54:55], s[54:55], vcc
.LBB6_87:                               ;   in Loop: Header=BB6_85 Depth=2
	s_andn2_b64 s[52:53], s[52:53], exec
	s_and_b64 s[56:57], s[56:57], exec
	s_mov_b64 vcc, -1
	s_or_b64 s[52:53], s[52:53], s[56:57]
	s_and_saveexec_b64 s[56:57], s[54:55]
	s_cbranch_execz .LBB6_84
; %bb.88:                               ;   in Loop: Header=BB6_85 Depth=2
	s_sleep 1
	s_trap 2
	ds_read_b64 v[0:1], v0
	s_andn2_b64 s[52:53], s[52:53], exec
	s_waitcnt lgkmcnt(0)
	v_cmp_ge_u64_e32 vcc, v[0:1], v[40:41]
	s_orn2_b64 vcc, vcc, exec
	s_branch .LBB6_84
.LBB6_89:                               ;   in Loop: Header=BB6_59 Depth=1
	s_or_b64 exec, exec, s[48:49]
	s_and_saveexec_b64 vcc, s[50:51]
	s_xor_b64 vcc, exec, vcc
	s_cbranch_execz .LBB6_91
; %bb.90:                               ;   in Loop: Header=BB6_59 Depth=1
	v_mov_b32_e32 v0, 1
	ds_write_b32 v0, v0
	s_trap 2
.LBB6_91:                               ;   in Loop: Header=BB6_59 Depth=1
	s_or_b64 exec, exec, s[46:47]
	;;#ASMSTART
	s_wakeup
	;;#ASMEND
.LBB6_92:                               ;   in Loop: Header=BB6_59 Depth=1
	s_or_b64 exec, exec, s[44:45]
.LBB6_93:                               ;   in Loop: Header=BB6_59 Depth=1
	s_andn2_saveexec_b64 vcc, s[42:43]
	s_cbranch_execz .LBB6_95
; %bb.94:                               ;   in Loop: Header=BB6_59 Depth=1
	s_waitcnt vmcnt(0) lgkmcnt(0)
	buffer_wbinvl1_vol
	s_barrier
.LBB6_95:                               ;   in Loop: Header=BB6_59 Depth=1
	s_or_b64 exec, exec, vcc
.LBB6_96:                               ;   in Loop: Header=BB6_59 Depth=1
	s_or_b64 exec, exec, s[20:21]
	v_sub_u32_e32 v52, v10, v42
	v_cmp_lt_i32_e32 vcc, 0, v52
	v_mov_b32_e32 v0, v22
	s_and_saveexec_b64 s[42:43], vcc
	s_cbranch_execnz .LBB6_124
; %bb.97:                               ;   in Loop: Header=BB6_59 Depth=1
	s_or_b64 exec, exec, s[42:43]
	s_and_saveexec_b64 s[20:21], s[14:15]
	s_cbranch_execnz .LBB6_189
.LBB6_98:                               ;   in Loop: Header=BB6_59 Depth=1
	s_or_b64 exec, exec, s[20:21]
	s_and_saveexec_b64 s[20:21], s[18:19]
	s_cbranch_execz .LBB6_100
.LBB6_99:                               ;   in Loop: Header=BB6_59 Depth=1
	v_add_co_u32_e32 v34, vcc, 1, v34
	v_accvgpr_read_b32 v10, a12
	v_addc_co_u32_e32 v35, vcc, 0, v35, vcc
	v_accvgpr_read_b32 v11, a13
	flat_store_dwordx2 v[10:11], v[34:35]
.LBB6_100:                              ;   in Loop: Header=BB6_59 Depth=1
	s_or_b64 exec, exec, s[20:21]
	v_and_b32_e32 v52, 0x7ffffff8, v32
	v_cmp_eq_u64_e32 vcc, s[36:37], v[52:53]
	v_cmp_gt_i32_e64 s[20:21], v62, v0
	s_and_b64 s[20:21], vcc, s[20:21]
	s_and_saveexec_b64 s[42:43], s[20:21]
	s_cbranch_execz .LBB6_103
; %bb.101:                              ;   in Loop: Header=BB6_59 Depth=1
	v_and_b32_e32 v1, 7, v32
	v_mul_lo_u32 v12, v1, v62
	v_mov_b32_e32 v1, v32
	v_add_co_u32_e64 v10, vcc, 0, 0
	v_ashrrev_i32_e32 v13, 31, v12
	v_addc_co_u32_e32 v11, vcc, 1, v1, vcc
	v_ashrrev_i32_e32 v1, 31, v0
	v_lshlrev_b64 v[14:15], 4, v[0:1]
	v_lshlrev_b64 v[12:13], 4, v[12:13]
	v_add_co_u32_e32 v1, vcc, v14, v12
	v_addc_co_u32_e32 v12, vcc, v15, v13, vcc
	v_accvgpr_read_b32 v15, a11
	v_accvgpr_read_b32 v14, a10
	v_add_co_u32_e32 v14, vcc, v14, v1
	v_addc_co_u32_e32 v15, vcc, v15, v12, vcc
	s_mov_b64 s[44:45], 0
.LBB6_102:                              ;   Parent Loop BB6_59 Depth=1
                                        ; =>  This Inner Loop Header: Depth=2
	v_mov_b32_e32 v12, v10
	v_mov_b32_e32 v13, v11
	v_add_u32_e32 v0, v0, v2
	global_store_dwordx4 v[14:15], v[10:13], off
	v_cmp_ge_i32_e32 vcc, v0, v62
	v_add_co_u32_e64 v14, s[20:21], v14, v46
	s_or_b64 s[44:45], vcc, s[44:45]
	v_addc_co_u32_e64 v15, vcc, v15, v47, s[20:21]
	s_andn2_b64 exec, exec, s[44:45]
	s_cbranch_execnz .LBB6_102
.LBB6_103:                              ;   in Loop: Header=BB6_59 Depth=1
	s_or_b64 exec, exec, s[42:43]
	v_add_co_u32_e32 v26, vcc, 1, v26
	v_addc_co_u32_e32 v27, vcc, 0, v27, vcc
	v_add_co_u32_e32 v32, vcc, 1, v32
	v_addc_co_u32_e32 v33, vcc, 0, v33, vcc
                                        ; implicit-def: $vgpr10
                                        ; implicit-def: $vgpr11
                                        ; implicit-def: $vgpr12
.LBB6_104:                              ;   in Loop: Header=BB6_59 Depth=1
	s_andn2_saveexec_b64 s[40:41], s[40:41]
	s_cbranch_execz .LBB6_116
; %bb.105:                              ;   in Loop: Header=BB6_59 Depth=1
	v_sub_u32_e32 v20, v10, v42
	v_cmp_lt_i32_e32 vcc, 0, v20
	s_and_saveexec_b64 s[42:43], vcc
	s_cbranch_execnz .LBB6_156
; %bb.106:                              ;   in Loop: Header=BB6_59 Depth=1
	s_or_b64 exec, exec, s[42:43]
	s_and_saveexec_b64 s[20:21], s[14:15]
	s_cbranch_execnz .LBB6_201
.LBB6_107:                              ;   in Loop: Header=BB6_59 Depth=1
	s_or_b64 exec, exec, s[20:21]
	s_and_saveexec_b64 s[20:21], s[18:19]
	s_cbranch_execz .LBB6_109
.LBB6_108:                              ;   in Loop: Header=BB6_59 Depth=1
	v_add_co_u32_e32 v34, vcc, 1, v34
	v_accvgpr_read_b32 v0, a12
	v_addc_co_u32_e32 v35, vcc, 0, v35, vcc
	v_accvgpr_read_b32 v1, a13
	flat_store_dwordx2 v[0:1], v[34:35]
.LBB6_109:                              ;   in Loop: Header=BB6_59 Depth=1
	s_or_b64 exec, exec, s[20:21]
	v_add_co_u32_e32 v26, vcc, 1, v26
	v_addc_co_u32_e32 v27, vcc, 0, v27, vcc
	s_or_b64 exec, exec, s[40:41]
                                        ; implicit-def: $vgpr10
.LBB6_110:                              ;   in Loop: Header=BB6_59 Depth=1
	s_andn2_saveexec_b64 s[38:39], s[38:39]
	s_cbranch_execz .LBB6_58
.LBB6_111:                              ;   in Loop: Header=BB6_59 Depth=1
	v_add_u32_e32 v0, 7, v10
	v_ashrrev_i32_e32 v1, 31, v0
	v_lshrrev_b32_e32 v1, 29, v1
	v_add_u32_e32 v0, v0, v1
	v_ashrrev_i32_e32 v11, 3, v0
	s_and_saveexec_b64 s[20:21], s[34:35]
	s_xor_b64 s[40:41], exec, s[20:21]
	s_cbranch_execz .LBB6_280
; %bb.112:                              ;   in Loop: Header=BB6_59 Depth=1
	s_and_saveexec_b64 s[20:21], s[10:11]
	s_cbranch_execz .LBB6_217
; %bb.113:                              ;   in Loop: Header=BB6_59 Depth=1
	v_add_co_u32_e32 v0, vcc, 1, v8
	v_addc_co_u32_e32 v1, vcc, 0, v9, vcc
	s_waitcnt vmcnt(0) lgkmcnt(0)
	v_add_co_u32_e32 v12, vcc, 8, v48
	v_addc_co_u32_e32 v13, vcc, 0, v49, vcc
	v_cmp_lt_u64_e32 vcc, v[12:13], v[0:1]
	s_and_saveexec_b64 s[42:43], vcc
	s_cbranch_execz .LBB6_214
; %bb.114:                              ;   in Loop: Header=BB6_59 Depth=1
	s_sleep 1
	flat_load_dwordx2 v[48:49], v[38:39] glc
	v_cmp_eq_u32_e32 vcc, 0, v23
	s_and_saveexec_b64 s[44:45], vcc
	s_cbranch_execz .LBB6_213
; %bb.115:                              ;   in Loop: Header=BB6_59 Depth=1
	v_cndmask_b32_e64 v9, 0, 1, vcc
	s_mov_b64 s[46:47], 0
                                        ; implicit-def: $sgpr48_sgpr49
	s_branch .LBB6_120
.LBB6_116:                              ;   in Loop: Header=BB6_59 Depth=1
	s_or_b64 exec, exec, s[40:41]
                                        ; implicit-def: $vgpr10
	s_andn2_saveexec_b64 s[38:39], s[38:39]
	s_cbranch_execz .LBB6_58
	s_branch .LBB6_111
.LBB6_117:                              ;   in Loop: Header=BB6_120 Depth=2
	s_or_b64 exec, exec, s[56:57]
	s_orn2_b64 s[54:55], s[54:55], exec
.LBB6_118:                              ;   in Loop: Header=BB6_120 Depth=2
	s_or_b64 exec, exec, s[52:53]
	s_xor_b64 vcc, s[54:55], -1
	s_andn2_b64 s[48:49], s[48:49], exec
	s_and_b64 vcc, vcc, exec
	s_or_b64 s[48:49], s[48:49], vcc
.LBB6_119:                              ;   in Loop: Header=BB6_120 Depth=2
	s_or_b64 exec, exec, s[50:51]
	s_and_b64 vcc, exec, s[48:49]
	s_or_b64 s[46:47], vcc, s[46:47]
	s_andn2_b64 exec, exec, s[46:47]
	s_cbranch_execz .LBB6_212
.LBB6_120:                              ;   Parent Loop BB6_59 Depth=1
                                        ; =>  This Inner Loop Header: Depth=2
	s_waitcnt vmcnt(0) lgkmcnt(0)
	v_add_co_u32_e32 v12, vcc, 8, v48
	v_addc_co_u32_e32 v13, vcc, 0, v49, vcc
	v_cmp_lt_u64_e32 vcc, v[12:13], v[0:1]
	v_mov_b32_e32 v23, 0
	s_or_b64 s[48:49], s[48:49], exec
	s_and_saveexec_b64 s[50:51], vcc
	s_cbranch_execz .LBB6_119
; %bb.121:                              ;   in Loop: Header=BB6_120 Depth=2
	s_sleep 1
	flat_load_dwordx2 v[48:49], v[38:39] glc
	v_add_u32_e32 v9, 1, v9
	v_cmp_eq_u32_e32 vcc, s58, v9
	s_mov_b64 s[54:55], -1
	v_mov_b32_e32 v23, 0
	s_and_saveexec_b64 s[52:53], vcc
	s_cbranch_execz .LBB6_118
; %bb.122:                              ;   in Loop: Header=BB6_120 Depth=2
	s_trap 2
	ds_read_b64 v[12:13], v0
	v_mov_b32_e32 v9, 0
	v_mov_b32_e32 v23, 0
	s_waitcnt vmcnt(0) lgkmcnt(0)
	flat_load_dword v12, v[12:13] glc
	s_waitcnt vmcnt(0) lgkmcnt(0)
	buffer_invl2
	buffer_wbinvl1_vol
	v_cmp_ne_u32_e32 vcc, 0, v12
	s_and_saveexec_b64 s[56:57], vcc
	s_cbranch_execz .LBB6_117
; %bb.123:                              ;   in Loop: Header=BB6_120 Depth=2
	v_mov_b32_e32 v23, 1
	s_xor_b64 s[54:55], exec, -1
	ds_write_b32 v0, v12
	s_trap 2
	s_branch .LBB6_117
.LBB6_124:                              ;   in Loop: Header=BB6_59 Depth=1
	v_accvgpr_read_b32 v0, a18
	v_add_co_u32_e32 v20, vcc, v0, v11
	v_accvgpr_read_b32 v0, a19
	v_addc_co_u32_e32 v21, vcc, v0, v12, vcc
	v_and_b32_e32 v0, 7, v26
	v_mul_lo_u32 v0, v0, v62
	v_ashrrev_i32_e32 v1, 31, v0
	v_accvgpr_read_b32 v11, a9
	v_lshlrev_b64 v[0:1], 4, v[0:1]
	v_accvgpr_read_b32 v10, a8
	v_add_co_u32_e32 v54, vcc, v10, v0
	v_and_b32_e32 v0, 7, v32
	v_mul_lo_u32 v0, v0, v62
	v_addc_co_u32_e32 v55, vcc, v11, v1, vcc
	v_ashrrev_i32_e32 v1, 31, v0
	v_lshlrev_b64 v[0:1], 4, v[0:1]
	v_accvgpr_read_b32 v10, a10
	v_accvgpr_read_b32 v11, a11
	v_add_co_u32_e32 v31, vcc, v10, v0
	v_addc_co_u32_e32 v28, vcc, v11, v1, vcc
	v_mov_b32_e32 v1, v32
	v_add_co_u32_e64 v29, vcc, 0, 0
	v_add_u32_e32 v25, 1, v26
	v_addc_co_u32_e32 v11, vcc, 1, v1, vcc
	s_mov_b64 s[44:45], 0
	v_mov_b32_e32 v0, v22
	s_branch .LBB6_126
.LBB6_125:                              ;   in Loop: Header=BB6_126 Depth=2
	v_add_co_u32_e32 v20, vcc, v20, v44
	v_addc_co_u32_e32 v21, vcc, v21, v45, vcc
	v_sub_u32_e32 v52, v52, v44
	v_cmp_gt_i32_e32 vcc, 1, v52
	s_or_b64 s[44:45], vcc, s[44:45]
	v_add_u32_e32 v0, v0, v2
	s_andn2_b64 exec, exec, s[44:45]
	s_cbranch_execz .LBB6_188
.LBB6_126:                              ;   Parent Loop BB6_59 Depth=1
                                        ; =>  This Loop Header: Depth=2
                                        ;       Child Loop BB6_130 Depth 3
	v_ashrrev_i32_e32 v1, 31, v0
	v_lshlrev_b64 v[12:13], 4, v[0:1]
	v_add_co_u32_e32 v36, vcc, v54, v12
	v_addc_co_u32_e32 v37, vcc, v55, v13, vcc
	global_load_dwordx4 v[14:17], v[36:37], off glc slc
	v_cmp_eq_u32_e32 vcc, 0, v23
	s_and_saveexec_b64 s[46:47], vcc
	s_cbranch_execz .LBB6_138
; %bb.127:                              ;   in Loop: Header=BB6_126 Depth=2
	s_waitcnt vmcnt(0)
	v_cmp_ne_u32_e32 vcc, v25, v15
	v_cmp_ne_u32_e64 s[20:21], v25, v17
	s_or_b64 s[20:21], vcc, s[20:21]
	v_mov_b32_e32 v23, 0
	s_and_saveexec_b64 s[48:49], s[20:21]
	s_cbranch_execz .LBB6_137
; %bb.128:                              ;   in Loop: Header=BB6_126 Depth=2
	s_mov_b32 s54, 1
	s_mov_b64 s[50:51], 0
	v_mov_b32_e32 v23, 0
	s_branch .LBB6_130
.LBB6_129:                              ;   in Loop: Header=BB6_130 Depth=3
	s_or_b64 exec, exec, s[52:53]
	s_and_b64 s[20:21], exec, s[20:21]
	s_or_b64 s[50:51], s[20:21], s[50:51]
	s_andn2_b64 exec, exec, s[50:51]
	s_cbranch_execz .LBB6_136
.LBB6_130:                              ;   Parent Loop BB6_59 Depth=1
                                        ;     Parent Loop BB6_126 Depth=2
                                        ; =>    This Inner Loop Header: Depth=3
	global_load_dwordx4 v[14:17], v[36:37], off glc slc
	s_add_i32 s54, s54, 1
	s_cmpk_lg_i32 s54, 0x2710
	s_cbranch_scc1 .LBB6_134
; %bb.131:                              ;   in Loop: Header=BB6_130 Depth=3
	s_trap 2
	ds_read_b64 v[18:19], v0
	s_waitcnt vmcnt(0) lgkmcnt(0)
	flat_load_dword v1, v[18:19] glc
	s_waitcnt vmcnt(0) lgkmcnt(0)
	buffer_invl2
	buffer_wbinvl1_vol
	v_cmp_ne_u32_e32 vcc, 0, v1
	s_and_saveexec_b64 s[20:21], vcc
	s_cbranch_execz .LBB6_133
; %bb.132:                              ;   in Loop: Header=BB6_130 Depth=3
	v_mov_b32_e32 v23, 1
	ds_write_b32 v0, v1
	s_trap 2
.LBB6_133:                              ;   in Loop: Header=BB6_130 Depth=3
	s_or_b64 exec, exec, s[20:21]
	s_mov_b32 s54, 0
	v_mov_b32_e32 v1, v23
	v_cmp_eq_u32_e32 vcc, 0, v1
	s_mov_b64 s[20:21], -1
	s_and_saveexec_b64 s[52:53], vcc
	s_cbranch_execz .LBB6_129
	s_branch .LBB6_135
.LBB6_134:                              ;   in Loop: Header=BB6_130 Depth=3
	v_mov_b32_e32 v1, 0
	v_cmp_eq_u32_e32 vcc, 0, v1
	s_mov_b64 s[20:21], -1
	s_and_saveexec_b64 s[52:53], vcc
	s_cbranch_execz .LBB6_129
.LBB6_135:                              ;   in Loop: Header=BB6_130 Depth=3
	s_waitcnt vmcnt(0)
	v_cmp_eq_u32_e32 vcc, v25, v15
	v_cmp_eq_u32_e64 s[20:21], v25, v17
	s_and_b64 s[20:21], vcc, s[20:21]
	s_orn2_b64 s[20:21], s[20:21], exec
	s_branch .LBB6_129
.LBB6_136:                              ;   in Loop: Header=BB6_126 Depth=2
	s_or_b64 exec, exec, s[50:51]
.LBB6_137:                              ;   in Loop: Header=BB6_126 Depth=2
	s_or_b64 exec, exec, s[48:49]
.LBB6_138:                              ;   in Loop: Header=BB6_126 Depth=2
	s_or_b64 exec, exec, s[46:47]
	v_add_co_u32_e32 v18, vcc, v31, v12
	v_addc_co_u32_e32 v19, vcc, v28, v13, vcc
	s_waitcnt vmcnt(0)
	v_or_b32_e32 v10, v14, v29
	v_or_b32_e32 v12, v16, v29
	v_mov_b32_e32 v13, v11
	v_cmp_lt_u32_e32 vcc, 7, v52
	global_store_dwordx4 v[18:19], v[10:13], off
	v_mov_b32_e32 v1, v16
	v_cndmask_b32_e64 v10, 0, 1, vcc
	;;#ASMSTART
	;;#ASMEND
	v_cmp_ne_u32_e64 s[20:21], 0, v10
	s_cmp_lg_u64 s[20:21], exec
	s_mov_b64 s[20:21], -1
	s_cbranch_scc0 .LBB6_148
; %bb.139:                              ;   in Loop: Header=BB6_126 Depth=2
	v_cmp_ne_u32_e64 s[20:21], 1, v52
	flat_store_byte v[20:21], v14
	s_and_saveexec_b64 s[46:47], s[20:21]
	s_cbranch_execnz .LBB6_150
; %bb.140:                              ;   in Loop: Header=BB6_126 Depth=2
	s_or_b64 exec, exec, s[46:47]
	v_cmp_lt_u32_e64 s[20:21], 2, v52
	s_and_saveexec_b64 s[46:47], s[20:21]
	s_cbranch_execnz .LBB6_151
.LBB6_141:                              ;   in Loop: Header=BB6_126 Depth=2
	s_or_b64 exec, exec, s[46:47]
	v_cmp_lt_u32_e64 s[20:21], 3, v52
	s_and_saveexec_b64 s[46:47], s[20:21]
	s_cbranch_execnz .LBB6_152
.LBB6_142:                              ;   in Loop: Header=BB6_126 Depth=2
	s_or_b64 exec, exec, s[46:47]
	v_cmp_lt_u32_e64 s[20:21], 4, v52
	s_and_saveexec_b64 s[46:47], s[20:21]
	s_cbranch_execnz .LBB6_153
.LBB6_143:                              ;   in Loop: Header=BB6_126 Depth=2
	s_or_b64 exec, exec, s[46:47]
	v_cmp_lt_u32_e64 s[20:21], 5, v52
	s_and_saveexec_b64 s[46:47], s[20:21]
	s_cbranch_execnz .LBB6_154
.LBB6_144:                              ;   in Loop: Header=BB6_126 Depth=2
	s_or_b64 exec, exec, s[46:47]
	v_cmp_lt_u32_e64 s[20:21], 6, v52
	s_and_saveexec_b64 s[46:47], s[20:21]
	s_cbranch_execnz .LBB6_155
.LBB6_145:                              ;   in Loop: Header=BB6_126 Depth=2
	s_or_b64 exec, exec, s[46:47]
	s_and_saveexec_b64 s[20:21], vcc
	s_cbranch_execz .LBB6_147
.LBB6_146:                              ;   in Loop: Header=BB6_126 Depth=2
	v_lshrrev_b32_e32 v10, 24, v1
	flat_store_byte v[20:21], v10 offset:7
.LBB6_147:                              ;   in Loop: Header=BB6_126 Depth=2
	s_or_b64 exec, exec, s[20:21]
	s_mov_b64 s[20:21], 0
.LBB6_148:                              ;   in Loop: Header=BB6_126 Depth=2
	s_and_b64 vcc, exec, s[20:21]
	s_cbranch_vccz .LBB6_125
; %bb.149:                              ;   in Loop: Header=BB6_126 Depth=2
	v_or_b32_e32 v15, 0, v1
	global_store_dwordx2 v[20:21], v[14:15], off
	s_branch .LBB6_125
.LBB6_150:                              ;   in Loop: Header=BB6_126 Depth=2
	v_lshrrev_b32_e32 v10, 8, v14
	flat_store_byte v[20:21], v10 offset:1
	s_or_b64 exec, exec, s[46:47]
	v_cmp_lt_u32_e64 s[20:21], 2, v52
	s_and_saveexec_b64 s[46:47], s[20:21]
	s_cbranch_execz .LBB6_141
.LBB6_151:                              ;   in Loop: Header=BB6_126 Depth=2
	flat_store_byte_d16_hi v[20:21], v14 offset:2
	s_or_b64 exec, exec, s[46:47]
	v_cmp_lt_u32_e64 s[20:21], 3, v52
	s_and_saveexec_b64 s[46:47], s[20:21]
	s_cbranch_execz .LBB6_142
.LBB6_152:                              ;   in Loop: Header=BB6_126 Depth=2
	v_lshrrev_b32_e32 v10, 24, v14
	flat_store_byte v[20:21], v10 offset:3
	s_or_b64 exec, exec, s[46:47]
	v_cmp_lt_u32_e64 s[20:21], 4, v52
	s_and_saveexec_b64 s[46:47], s[20:21]
	s_cbranch_execz .LBB6_143
.LBB6_153:                              ;   in Loop: Header=BB6_126 Depth=2
	flat_store_byte v[20:21], v16 offset:4
	s_or_b64 exec, exec, s[46:47]
	v_cmp_lt_u32_e64 s[20:21], 5, v52
	s_and_saveexec_b64 s[46:47], s[20:21]
	s_cbranch_execz .LBB6_144
.LBB6_154:                              ;   in Loop: Header=BB6_126 Depth=2
	v_lshrrev_b32_e32 v10, 8, v1
	flat_store_byte v[20:21], v10 offset:5
	s_or_b64 exec, exec, s[46:47]
	v_cmp_lt_u32_e64 s[20:21], 6, v52
	s_and_saveexec_b64 s[46:47], s[20:21]
	s_cbranch_execz .LBB6_145
.LBB6_155:                              ;   in Loop: Header=BB6_126 Depth=2
	flat_store_byte_d16_hi v[20:21], v1 offset:6
	s_or_b64 exec, exec, s[46:47]
	s_and_saveexec_b64 s[20:21], vcc
	s_cbranch_execnz .LBB6_146
	s_branch .LBB6_147
.LBB6_156:                              ;   in Loop: Header=BB6_59 Depth=1
	v_accvgpr_read_b32 v0, a18
	v_and_b32_e32 v10, 7, v26
	v_add_co_u32_e32 v0, vcc, v0, v11
	v_accvgpr_read_b32 v1, a19
	v_mul_lo_u32 v10, v10, v62
	v_addc_co_u32_e32 v1, vcc, v1, v12, vcc
	v_ashrrev_i32_e32 v11, 31, v10
	v_accvgpr_read_b32 v13, a9
	v_lshlrev_b64 v[10:11], 4, v[10:11]
	v_accvgpr_read_b32 v12, a8
	v_add_co_u32_e32 v21, vcc, v12, v10
	v_addc_co_u32_e32 v25, vcc, v13, v11, vcc
	v_add_u32_e32 v28, 1, v26
	s_mov_b64 s[44:45], 0
	v_mov_b32_e32 v14, v22
	s_branch .LBB6_158
.LBB6_157:                              ;   in Loop: Header=BB6_158 Depth=2
	v_add_co_u32_e32 v0, vcc, v0, v44
	v_addc_co_u32_e32 v1, vcc, v1, v45, vcc
	v_sub_u32_e32 v20, v20, v44
	v_cmp_gt_i32_e32 vcc, 1, v20
	s_or_b64 s[44:45], vcc, s[44:45]
	v_add_u32_e32 v14, v14, v2
	s_andn2_b64 exec, exec, s[44:45]
	s_cbranch_execz .LBB6_200
.LBB6_158:                              ;   Parent Loop BB6_59 Depth=1
                                        ; =>  This Loop Header: Depth=2
                                        ;       Child Loop BB6_162 Depth 3
	v_ashrrev_i32_e32 v15, 31, v14
	v_lshlrev_b64 v[10:11], 4, v[14:15]
	v_add_co_u32_e32 v16, vcc, v21, v10
	v_addc_co_u32_e32 v17, vcc, v25, v11, vcc
	global_load_dwordx4 v[10:13], v[16:17], off glc slc
	v_cmp_eq_u32_e32 vcc, 0, v23
	s_and_saveexec_b64 s[46:47], vcc
	s_cbranch_execz .LBB6_170
; %bb.159:                              ;   in Loop: Header=BB6_158 Depth=2
	s_waitcnt vmcnt(0)
	v_cmp_ne_u32_e32 vcc, v28, v11
	v_cmp_ne_u32_e64 s[20:21], v28, v13
	s_or_b64 s[20:21], vcc, s[20:21]
	v_mov_b32_e32 v23, 0
	s_and_saveexec_b64 s[48:49], s[20:21]
	s_cbranch_execz .LBB6_169
; %bb.160:                              ;   in Loop: Header=BB6_158 Depth=2
	s_mov_b32 s54, 1
	s_mov_b64 s[50:51], 0
	v_mov_b32_e32 v23, 0
	s_branch .LBB6_162
.LBB6_161:                              ;   in Loop: Header=BB6_162 Depth=3
	s_or_b64 exec, exec, s[52:53]
	s_and_b64 s[20:21], exec, s[20:21]
	s_or_b64 s[50:51], s[20:21], s[50:51]
	s_andn2_b64 exec, exec, s[50:51]
	s_cbranch_execz .LBB6_168
.LBB6_162:                              ;   Parent Loop BB6_59 Depth=1
                                        ;     Parent Loop BB6_158 Depth=2
                                        ; =>    This Inner Loop Header: Depth=3
	global_load_dwordx4 v[10:13], v[16:17], off glc slc
	s_add_i32 s54, s54, 1
	s_cmpk_lg_i32 s54, 0x2710
	s_cbranch_scc1 .LBB6_166
; %bb.163:                              ;   in Loop: Header=BB6_162 Depth=3
	s_trap 2
	ds_read_b64 v[36:37], v0
	s_waitcnt vmcnt(0) lgkmcnt(0)
	flat_load_dword v15, v[36:37] glc
	s_waitcnt vmcnt(0) lgkmcnt(0)
	buffer_invl2
	buffer_wbinvl1_vol
	v_cmp_ne_u32_e32 vcc, 0, v15
	s_and_saveexec_b64 s[20:21], vcc
	s_cbranch_execz .LBB6_165
; %bb.164:                              ;   in Loop: Header=BB6_162 Depth=3
	v_mov_b32_e32 v23, 1
	ds_write_b32 v0, v15
	s_trap 2
.LBB6_165:                              ;   in Loop: Header=BB6_162 Depth=3
	s_or_b64 exec, exec, s[20:21]
	s_mov_b32 s54, 0
	v_mov_b32_e32 v15, v23
	v_cmp_eq_u32_e32 vcc, 0, v15
	s_mov_b64 s[20:21], -1
	s_and_saveexec_b64 s[52:53], vcc
	s_cbranch_execz .LBB6_161
	s_branch .LBB6_167
.LBB6_166:                              ;   in Loop: Header=BB6_162 Depth=3
	v_mov_b32_e32 v15, 0
	v_cmp_eq_u32_e32 vcc, 0, v15
	s_mov_b64 s[20:21], -1
	s_and_saveexec_b64 s[52:53], vcc
	s_cbranch_execz .LBB6_161
.LBB6_167:                              ;   in Loop: Header=BB6_162 Depth=3
	s_waitcnt vmcnt(0)
	v_cmp_eq_u32_e32 vcc, v28, v11
	v_cmp_eq_u32_e64 s[20:21], v28, v13
	s_and_b64 s[20:21], vcc, s[20:21]
	s_orn2_b64 s[20:21], s[20:21], exec
	s_branch .LBB6_161
.LBB6_168:                              ;   in Loop: Header=BB6_158 Depth=2
	s_or_b64 exec, exec, s[50:51]
.LBB6_169:                              ;   in Loop: Header=BB6_158 Depth=2
	s_or_b64 exec, exec, s[48:49]
.LBB6_170:                              ;   in Loop: Header=BB6_158 Depth=2
	s_or_b64 exec, exec, s[46:47]
	v_cmp_lt_u32_e32 vcc, 7, v20
	s_waitcnt vmcnt(0)
	v_cndmask_b32_e64 v13, 0, 1, vcc
	;;#ASMSTART
	;;#ASMEND
	v_cmp_ne_u32_e64 s[20:21], 0, v13
	v_mov_b32_e32 v11, v12
	s_cmp_lg_u64 s[20:21], exec
	s_mov_b64 s[20:21], -1
	s_cbranch_scc0 .LBB6_180
; %bb.171:                              ;   in Loop: Header=BB6_158 Depth=2
	v_cmp_ne_u32_e64 s[20:21], 1, v20
	flat_store_byte v[0:1], v10
	s_and_saveexec_b64 s[46:47], s[20:21]
	s_cbranch_execnz .LBB6_182
; %bb.172:                              ;   in Loop: Header=BB6_158 Depth=2
	s_or_b64 exec, exec, s[46:47]
	v_cmp_lt_u32_e64 s[20:21], 2, v20
	s_and_saveexec_b64 s[46:47], s[20:21]
	s_cbranch_execnz .LBB6_183
.LBB6_173:                              ;   in Loop: Header=BB6_158 Depth=2
	s_or_b64 exec, exec, s[46:47]
	v_cmp_lt_u32_e64 s[20:21], 3, v20
	s_and_saveexec_b64 s[46:47], s[20:21]
	s_cbranch_execnz .LBB6_184
.LBB6_174:                              ;   in Loop: Header=BB6_158 Depth=2
	s_or_b64 exec, exec, s[46:47]
	v_cmp_lt_u32_e64 s[20:21], 4, v20
	s_and_saveexec_b64 s[46:47], s[20:21]
	s_cbranch_execnz .LBB6_185
.LBB6_175:                              ;   in Loop: Header=BB6_158 Depth=2
	s_or_b64 exec, exec, s[46:47]
	v_cmp_lt_u32_e64 s[20:21], 5, v20
	s_and_saveexec_b64 s[46:47], s[20:21]
	s_cbranch_execnz .LBB6_186
.LBB6_176:                              ;   in Loop: Header=BB6_158 Depth=2
	s_or_b64 exec, exec, s[46:47]
	v_cmp_lt_u32_e64 s[20:21], 6, v20
	s_and_saveexec_b64 s[46:47], s[20:21]
	s_cbranch_execnz .LBB6_187
.LBB6_177:                              ;   in Loop: Header=BB6_158 Depth=2
	s_or_b64 exec, exec, s[46:47]
	s_and_saveexec_b64 s[20:21], vcc
	s_cbranch_execz .LBB6_179
.LBB6_178:                              ;   in Loop: Header=BB6_158 Depth=2
	v_lshrrev_b32_e32 v12, 24, v11
	flat_store_byte v[0:1], v12 offset:7
.LBB6_179:                              ;   in Loop: Header=BB6_158 Depth=2
	s_or_b64 exec, exec, s[20:21]
	s_mov_b64 s[20:21], 0
.LBB6_180:                              ;   in Loop: Header=BB6_158 Depth=2
	s_and_b64 vcc, exec, s[20:21]
	s_cbranch_vccz .LBB6_157
; %bb.181:                              ;   in Loop: Header=BB6_158 Depth=2
	global_store_dwordx2 v[0:1], v[10:11], off
	s_branch .LBB6_157
.LBB6_182:                              ;   in Loop: Header=BB6_158 Depth=2
	v_lshrrev_b32_e32 v13, 8, v10
	flat_store_byte v[0:1], v13 offset:1
	s_or_b64 exec, exec, s[46:47]
	v_cmp_lt_u32_e64 s[20:21], 2, v20
	s_and_saveexec_b64 s[46:47], s[20:21]
	s_cbranch_execz .LBB6_173
.LBB6_183:                              ;   in Loop: Header=BB6_158 Depth=2
	flat_store_byte_d16_hi v[0:1], v10 offset:2
	s_or_b64 exec, exec, s[46:47]
	v_cmp_lt_u32_e64 s[20:21], 3, v20
	s_and_saveexec_b64 s[46:47], s[20:21]
	s_cbranch_execz .LBB6_174
.LBB6_184:                              ;   in Loop: Header=BB6_158 Depth=2
	v_lshrrev_b32_e32 v13, 24, v10
	flat_store_byte v[0:1], v13 offset:3
	s_or_b64 exec, exec, s[46:47]
	v_cmp_lt_u32_e64 s[20:21], 4, v20
	s_and_saveexec_b64 s[46:47], s[20:21]
	s_cbranch_execz .LBB6_175
.LBB6_185:                              ;   in Loop: Header=BB6_158 Depth=2
	flat_store_byte v[0:1], v12 offset:4
	s_or_b64 exec, exec, s[46:47]
	v_cmp_lt_u32_e64 s[20:21], 5, v20
	s_and_saveexec_b64 s[46:47], s[20:21]
	s_cbranch_execz .LBB6_176
.LBB6_186:                              ;   in Loop: Header=BB6_158 Depth=2
	v_lshrrev_b32_e32 v12, 8, v11
	flat_store_byte v[0:1], v12 offset:5
	s_or_b64 exec, exec, s[46:47]
	v_cmp_lt_u32_e64 s[20:21], 6, v20
	s_and_saveexec_b64 s[46:47], s[20:21]
	s_cbranch_execz .LBB6_177
.LBB6_187:                              ;   in Loop: Header=BB6_158 Depth=2
	flat_store_byte_d16_hi v[0:1], v11 offset:6
	s_or_b64 exec, exec, s[46:47]
	s_and_saveexec_b64 s[20:21], vcc
	s_cbranch_execnz .LBB6_178
	s_branch .LBB6_179
.LBB6_188:                              ;   in Loop: Header=BB6_59 Depth=1
	s_or_b64 exec, exec, s[44:45]
	v_accvgpr_read_b32 v19, a15
	v_accvgpr_read_b32 v18, a14
	;; [unrolled: 1-line block ×3, first 2 shown]
	s_or_b64 exec, exec, s[42:43]
	s_and_saveexec_b64 s[20:21], s[14:15]
	s_cbranch_execz .LBB6_98
.LBB6_189:                              ;   in Loop: Header=BB6_59 Depth=1
	s_and_saveexec_b64 vcc, s[30:31]
	s_xor_b64 s[42:43], exec, vcc
	s_cbranch_execz .LBB6_233
; %bb.190:                              ;   in Loop: Header=BB6_59 Depth=1
	s_and_saveexec_b64 s[44:45], s[16:17]
	s_cbranch_execz .LBB6_232
; %bb.191:                              ;   in Loop: Header=BB6_59 Depth=1
	s_mov_b64 s[48:49], exec
	v_mbcnt_lo_u32_b32 v1, s48, 0
	v_mbcnt_hi_u32_b32 v1, s49, v1
	v_cmp_eq_u32_e32 vcc, 0, v1
	s_waitcnt vmcnt(0) lgkmcnt(0)
	buffer_wbinvl1_vol
	s_and_saveexec_b64 s[46:47], vcc
	s_cbranch_execz .LBB6_193
; %bb.192:                              ;   in Loop: Header=BB6_59 Depth=1
	s_bcnt1_i32_b64 vcc_lo, s[48:49]
	v_mov_b32_e32 v52, vcc_lo
	ds_add_u64 v0, v[52:53]
	s_trap 2
.LBB6_193:                              ;   in Loop: Header=BB6_59 Depth=1
	s_or_b64 exec, exec, s[46:47]
	s_trap 2
	ds_read_b64 v[10:11], v0
	v_accvgpr_read_b32 v12, a16
	v_add_co_u32_e32 v40, vcc, v40, v12
	v_accvgpr_read_b32 v1, a17
	v_addc_co_u32_e32 v41, vcc, v41, v1, vcc
	s_waitcnt lgkmcnt(0)
	v_cmp_lt_u64_e32 vcc, v[10:11], v[40:41]
	s_and_saveexec_b64 s[46:47], vcc
	s_cbranch_execz .LBB6_231
; %bb.194:                              ;   in Loop: Header=BB6_59 Depth=1
	s_mov_b32 s59, 0
	s_mov_b64 s[48:49], 0
                                        ; implicit-def: $sgpr50_sgpr51
                                        ; implicit-def: $sgpr52_sgpr53
	s_branch .LBB6_196
.LBB6_195:                              ;   in Loop: Header=BB6_196 Depth=2
	s_or_b64 exec, exec, s[56:57]
	s_and_b64 vcc, exec, vcc
	s_or_b64 s[48:49], vcc, s[48:49]
	s_andn2_b64 vcc, s[50:51], exec
	s_and_b64 s[50:51], s[52:53], exec
	s_or_b64 s[50:51], vcc, s[50:51]
	s_andn2_b64 exec, exec, s[48:49]
	s_cbranch_execz .LBB6_229
.LBB6_196:                              ;   Parent Loop BB6_59 Depth=1
                                        ; =>  This Inner Loop Header: Depth=2
	s_add_i32 s59, s59, 1
	s_cmpk_lg_i32 s59, 0x2710
	s_cselect_b64 s[54:55], -1, 0
	s_and_b64 vcc, exec, s[54:55]
                                        ; implicit-def: $sgpr56_sgpr57
	s_cbranch_vccnz .LBB6_198
; %bb.197:                              ;   in Loop: Header=BB6_196 Depth=2
	s_trap 2
	ds_read_b64 v[10:11], v0
	s_andn2_b64 s[54:55], s[54:55], exec
	s_mov_b32 s59, 0
	s_mov_b64 s[56:57], -1
	s_waitcnt lgkmcnt(0)
	flat_load_dword v1, v[10:11] glc
	s_waitcnt vmcnt(0) lgkmcnt(0)
	buffer_invl2
	buffer_wbinvl1_vol
	v_cmp_eq_u32_e32 vcc, 0, v1
	s_and_b64 vcc, vcc, exec
	s_or_b64 s[54:55], s[54:55], vcc
.LBB6_198:                              ;   in Loop: Header=BB6_196 Depth=2
	s_andn2_b64 s[52:53], s[52:53], exec
	s_and_b64 s[56:57], s[56:57], exec
	s_mov_b64 vcc, -1
	s_or_b64 s[52:53], s[52:53], s[56:57]
	s_and_saveexec_b64 s[56:57], s[54:55]
	s_cbranch_execz .LBB6_195
; %bb.199:                              ;   in Loop: Header=BB6_196 Depth=2
	s_sleep 1
	s_trap 2
	ds_read_b64 v[10:11], v0
	s_andn2_b64 s[52:53], s[52:53], exec
	s_waitcnt lgkmcnt(0)
	v_cmp_ge_u64_e32 vcc, v[10:11], v[40:41]
	s_orn2_b64 vcc, vcc, exec
	s_branch .LBB6_195
.LBB6_200:                              ;   in Loop: Header=BB6_59 Depth=1
	s_or_b64 exec, exec, s[44:45]
	v_accvgpr_read_b32 v19, a15
	v_accvgpr_read_b32 v18, a14
	s_or_b64 exec, exec, s[42:43]
	s_and_saveexec_b64 s[20:21], s[14:15]
	s_cbranch_execz .LBB6_107
.LBB6_201:                              ;   in Loop: Header=BB6_59 Depth=1
	s_and_saveexec_b64 vcc, s[30:31]
	s_xor_b64 s[42:43], exec, vcc
	s_cbranch_execz .LBB6_240
; %bb.202:                              ;   in Loop: Header=BB6_59 Depth=1
	s_and_saveexec_b64 s[44:45], s[16:17]
	s_cbranch_execz .LBB6_239
; %bb.203:                              ;   in Loop: Header=BB6_59 Depth=1
	s_mov_b64 s[48:49], exec
	v_mbcnt_lo_u32_b32 v0, s48, 0
	v_mbcnt_hi_u32_b32 v0, s49, v0
	v_cmp_eq_u32_e32 vcc, 0, v0
	s_waitcnt vmcnt(0) lgkmcnt(0)
	buffer_wbinvl1_vol
	s_and_saveexec_b64 s[46:47], vcc
	s_cbranch_execz .LBB6_205
; %bb.204:                              ;   in Loop: Header=BB6_59 Depth=1
	s_bcnt1_i32_b64 vcc_lo, s[48:49]
	v_mov_b32_e32 v52, vcc_lo
	ds_add_u64 v0, v[52:53]
	s_trap 2
.LBB6_205:                              ;   in Loop: Header=BB6_59 Depth=1
	s_or_b64 exec, exec, s[46:47]
	s_trap 2
	ds_read_b64 v[0:1], v0
	v_accvgpr_read_b32 v10, a16
	v_add_co_u32_e32 v40, vcc, v40, v10
	v_accvgpr_read_b32 v11, a17
	v_addc_co_u32_e32 v41, vcc, v41, v11, vcc
	s_waitcnt lgkmcnt(0)
	v_cmp_lt_u64_e32 vcc, v[0:1], v[40:41]
	s_and_saveexec_b64 s[46:47], vcc
	s_cbranch_execz .LBB6_238
; %bb.206:                              ;   in Loop: Header=BB6_59 Depth=1
	s_mov_b32 s59, 0
	s_mov_b64 s[48:49], 0
                                        ; implicit-def: $sgpr50_sgpr51
                                        ; implicit-def: $sgpr52_sgpr53
	s_branch .LBB6_208
.LBB6_207:                              ;   in Loop: Header=BB6_208 Depth=2
	s_or_b64 exec, exec, s[56:57]
	s_and_b64 vcc, exec, vcc
	s_or_b64 s[48:49], vcc, s[48:49]
	s_andn2_b64 vcc, s[50:51], exec
	s_and_b64 s[50:51], s[52:53], exec
	s_or_b64 s[50:51], vcc, s[50:51]
	s_andn2_b64 exec, exec, s[48:49]
	s_cbranch_execz .LBB6_236
.LBB6_208:                              ;   Parent Loop BB6_59 Depth=1
                                        ; =>  This Inner Loop Header: Depth=2
	s_add_i32 s59, s59, 1
	s_cmpk_lg_i32 s59, 0x2710
	s_cselect_b64 s[54:55], -1, 0
	s_and_b64 vcc, exec, s[54:55]
                                        ; implicit-def: $sgpr56_sgpr57
	s_cbranch_vccnz .LBB6_210
; %bb.209:                              ;   in Loop: Header=BB6_208 Depth=2
	s_trap 2
	ds_read_b64 v[0:1], v0
	s_andn2_b64 s[54:55], s[54:55], exec
	s_mov_b32 s59, 0
	s_mov_b64 s[56:57], -1
	s_waitcnt lgkmcnt(0)
	flat_load_dword v0, v[0:1] glc
	s_waitcnt vmcnt(0) lgkmcnt(0)
	buffer_invl2
	buffer_wbinvl1_vol
	v_cmp_eq_u32_e32 vcc, 0, v0
	s_and_b64 vcc, vcc, exec
	s_or_b64 s[54:55], s[54:55], vcc
.LBB6_210:                              ;   in Loop: Header=BB6_208 Depth=2
	s_andn2_b64 s[52:53], s[52:53], exec
	s_and_b64 s[56:57], s[56:57], exec
	s_mov_b64 vcc, -1
	s_or_b64 s[52:53], s[52:53], s[56:57]
	s_and_saveexec_b64 s[56:57], s[54:55]
	s_cbranch_execz .LBB6_207
; %bb.211:                              ;   in Loop: Header=BB6_208 Depth=2
	s_sleep 1
	s_trap 2
	ds_read_b64 v[0:1], v0
	s_andn2_b64 s[52:53], s[52:53], exec
	s_waitcnt lgkmcnt(0)
	v_cmp_ge_u64_e32 vcc, v[0:1], v[40:41]
	s_orn2_b64 vcc, vcc, exec
	s_branch .LBB6_207
.LBB6_212:                              ;   in Loop: Header=BB6_59 Depth=1
	s_or_b64 exec, exec, s[46:47]
.LBB6_213:                              ;   in Loop: Header=BB6_59 Depth=1
	s_or_b64 exec, exec, s[44:45]
.LBB6_214:                              ;   in Loop: Header=BB6_59 Depth=1
	s_or_b64 exec, exec, s[42:43]
	s_and_saveexec_b64 s[42:43], s[12:13]
	s_cbranch_execz .LBB6_216
; %bb.215:                              ;   in Loop: Header=BB6_59 Depth=1
	v_and_b32_e32 v52, 0x7ffffff8, v8
	v_cmp_eq_u64_e32 vcc, s[36:37], v[52:53]
	v_cndmask_b32_e32 v9, v11, v62, vcc
	v_lshlrev_b32_e32 v12, 4, v9
	v_and_b32_e32 v8, 7, v8
	v_ashrrev_i32_e32 v13, 31, v12
	v_mad_u64_u32 v[8:9], vcc, v8, 24, v[6:7]
	flat_store_dwordx2 v[8:9], v[12:13] offset:8
	s_waitcnt vmcnt(0)
.LBB6_216:                              ;   in Loop: Header=BB6_59 Depth=1
	s_or_b64 exec, exec, s[42:43]
	v_pk_mov_b32 v[8:9], v[0:1], v[0:1] op_sel:[0,1]
.LBB6_217:                              ;   in Loop: Header=BB6_59 Depth=1
	s_or_b64 exec, exec, s[20:21]
	s_and_saveexec_b64 s[20:21], s[14:15]
	s_cbranch_execz .LBB6_250
; %bb.218:                              ;   in Loop: Header=BB6_59 Depth=1
	s_and_saveexec_b64 vcc, s[30:31]
	s_xor_b64 s[42:43], exec, vcc
	s_cbranch_execz .LBB6_247
; %bb.219:                              ;   in Loop: Header=BB6_59 Depth=1
	s_and_saveexec_b64 s[44:45], s[16:17]
	s_cbranch_execz .LBB6_246
; %bb.220:                              ;   in Loop: Header=BB6_59 Depth=1
	s_mov_b64 s[48:49], exec
	v_mbcnt_lo_u32_b32 v0, s48, 0
	v_mbcnt_hi_u32_b32 v0, s49, v0
	v_cmp_eq_u32_e32 vcc, 0, v0
	s_waitcnt vmcnt(0) lgkmcnt(0)
	buffer_wbinvl1_vol
	s_and_saveexec_b64 s[46:47], vcc
	s_cbranch_execz .LBB6_222
; %bb.221:                              ;   in Loop: Header=BB6_59 Depth=1
	s_bcnt1_i32_b64 vcc_lo, s[48:49]
	v_mov_b32_e32 v52, vcc_lo
	ds_add_u64 v0, v[52:53]
	s_trap 2
.LBB6_222:                              ;   in Loop: Header=BB6_59 Depth=1
	s_or_b64 exec, exec, s[46:47]
	s_trap 2
	ds_read_b64 v[0:1], v0
	v_accvgpr_read_b32 v12, a16
	v_add_co_u32_e32 v40, vcc, v40, v12
	v_accvgpr_read_b32 v11, a17
	v_addc_co_u32_e32 v41, vcc, v41, v11, vcc
	s_waitcnt lgkmcnt(0)
	v_cmp_lt_u64_e32 vcc, v[0:1], v[40:41]
	s_and_saveexec_b64 s[46:47], vcc
	s_cbranch_execz .LBB6_245
; %bb.223:                              ;   in Loop: Header=BB6_59 Depth=1
	s_mov_b32 s59, 0
	s_mov_b64 s[48:49], 0
                                        ; implicit-def: $sgpr50_sgpr51
                                        ; implicit-def: $sgpr52_sgpr53
	s_branch .LBB6_225
.LBB6_224:                              ;   in Loop: Header=BB6_225 Depth=2
	s_or_b64 exec, exec, s[56:57]
	s_and_b64 vcc, exec, vcc
	s_or_b64 s[48:49], vcc, s[48:49]
	s_andn2_b64 vcc, s[50:51], exec
	s_and_b64 s[50:51], s[52:53], exec
	s_or_b64 s[50:51], vcc, s[50:51]
	s_andn2_b64 exec, exec, s[48:49]
	s_cbranch_execz .LBB6_243
.LBB6_225:                              ;   Parent Loop BB6_59 Depth=1
                                        ; =>  This Inner Loop Header: Depth=2
	s_add_i32 s59, s59, 1
	s_cmpk_lg_i32 s59, 0x2710
	s_cselect_b64 s[54:55], -1, 0
	s_and_b64 vcc, exec, s[54:55]
                                        ; implicit-def: $sgpr56_sgpr57
	s_cbranch_vccnz .LBB6_227
; %bb.226:                              ;   in Loop: Header=BB6_225 Depth=2
	s_trap 2
	ds_read_b64 v[0:1], v0
	s_andn2_b64 s[54:55], s[54:55], exec
	s_mov_b32 s59, 0
	s_mov_b64 s[56:57], -1
	s_waitcnt lgkmcnt(0)
	flat_load_dword v0, v[0:1] glc
	s_waitcnt vmcnt(0) lgkmcnt(0)
	buffer_invl2
	buffer_wbinvl1_vol
	v_cmp_eq_u32_e32 vcc, 0, v0
	s_and_b64 vcc, vcc, exec
	s_or_b64 s[54:55], s[54:55], vcc
.LBB6_227:                              ;   in Loop: Header=BB6_225 Depth=2
	s_andn2_b64 s[52:53], s[52:53], exec
	s_and_b64 s[56:57], s[56:57], exec
	s_mov_b64 vcc, -1
	s_or_b64 s[52:53], s[52:53], s[56:57]
	s_and_saveexec_b64 s[56:57], s[54:55]
	s_cbranch_execz .LBB6_224
; %bb.228:                              ;   in Loop: Header=BB6_225 Depth=2
	s_sleep 1
	s_trap 2
	ds_read_b64 v[0:1], v0
	s_andn2_b64 s[52:53], s[52:53], exec
	s_waitcnt lgkmcnt(0)
	v_cmp_ge_u64_e32 vcc, v[0:1], v[40:41]
	s_orn2_b64 vcc, vcc, exec
	s_branch .LBB6_224
.LBB6_229:                              ;   in Loop: Header=BB6_59 Depth=1
	s_or_b64 exec, exec, s[48:49]
	s_and_saveexec_b64 vcc, s[50:51]
	s_xor_b64 vcc, exec, vcc
	s_cbranch_execz .LBB6_231
; %bb.230:                              ;   in Loop: Header=BB6_59 Depth=1
	v_mov_b32_e32 v1, 1
	ds_write_b32 v0, v1
	s_trap 2
.LBB6_231:                              ;   in Loop: Header=BB6_59 Depth=1
	s_or_b64 exec, exec, s[46:47]
	;;#ASMSTART
	s_wakeup
	;;#ASMEND
.LBB6_232:                              ;   in Loop: Header=BB6_59 Depth=1
	s_or_b64 exec, exec, s[44:45]
.LBB6_233:                              ;   in Loop: Header=BB6_59 Depth=1
	s_andn2_saveexec_b64 vcc, s[42:43]
	s_cbranch_execz .LBB6_235
; %bb.234:                              ;   in Loop: Header=BB6_59 Depth=1
	s_waitcnt vmcnt(0) lgkmcnt(0)
	buffer_wbinvl1_vol
	s_barrier
.LBB6_235:                              ;   in Loop: Header=BB6_59 Depth=1
	s_or_b64 exec, exec, vcc
	s_or_b64 exec, exec, s[20:21]
	s_and_saveexec_b64 s[20:21], s[18:19]
	s_cbranch_execnz .LBB6_99
	s_branch .LBB6_100
.LBB6_236:                              ;   in Loop: Header=BB6_59 Depth=1
	s_or_b64 exec, exec, s[48:49]
	s_and_saveexec_b64 vcc, s[50:51]
	s_xor_b64 vcc, exec, vcc
	s_cbranch_execz .LBB6_238
; %bb.237:                              ;   in Loop: Header=BB6_59 Depth=1
	v_mov_b32_e32 v0, 1
	ds_write_b32 v0, v0
	s_trap 2
.LBB6_238:                              ;   in Loop: Header=BB6_59 Depth=1
	s_or_b64 exec, exec, s[46:47]
	;;#ASMSTART
	s_wakeup
	;;#ASMEND
.LBB6_239:                              ;   in Loop: Header=BB6_59 Depth=1
	s_or_b64 exec, exec, s[44:45]
.LBB6_240:                              ;   in Loop: Header=BB6_59 Depth=1
	s_andn2_saveexec_b64 vcc, s[42:43]
	s_cbranch_execz .LBB6_242
; %bb.241:                              ;   in Loop: Header=BB6_59 Depth=1
	s_waitcnt vmcnt(0) lgkmcnt(0)
	buffer_wbinvl1_vol
	s_barrier
.LBB6_242:                              ;   in Loop: Header=BB6_59 Depth=1
	s_or_b64 exec, exec, vcc
	s_or_b64 exec, exec, s[20:21]
	s_and_saveexec_b64 s[20:21], s[18:19]
	s_cbranch_execnz .LBB6_108
	s_branch .LBB6_109
.LBB6_243:                              ;   in Loop: Header=BB6_59 Depth=1
	s_or_b64 exec, exec, s[48:49]
	s_and_saveexec_b64 vcc, s[50:51]
	s_xor_b64 vcc, exec, vcc
	s_cbranch_execz .LBB6_245
; %bb.244:                              ;   in Loop: Header=BB6_59 Depth=1
	v_mov_b32_e32 v0, 1
	ds_write_b32 v0, v0
	s_trap 2
.LBB6_245:                              ;   in Loop: Header=BB6_59 Depth=1
	s_or_b64 exec, exec, s[46:47]
	;;#ASMSTART
	s_wakeup
	;;#ASMEND
.LBB6_246:                              ;   in Loop: Header=BB6_59 Depth=1
	s_or_b64 exec, exec, s[44:45]
.LBB6_247:                              ;   in Loop: Header=BB6_59 Depth=1
	s_andn2_saveexec_b64 vcc, s[42:43]
	s_cbranch_execz .LBB6_249
; %bb.248:                              ;   in Loop: Header=BB6_59 Depth=1
	s_waitcnt vmcnt(0) lgkmcnt(0)
	buffer_wbinvl1_vol
	s_barrier
.LBB6_249:                              ;   in Loop: Header=BB6_59 Depth=1
	s_or_b64 exec, exec, vcc
.LBB6_250:                              ;   in Loop: Header=BB6_59 Depth=1
	s_or_b64 exec, exec, s[20:21]
	v_sub_u32_e32 v1, v10, v42
	v_cmp_lt_i32_e32 vcc, 0, v1
	v_mov_b32_e32 v0, v22
	s_and_saveexec_b64 s[42:43], vcc
	s_cbranch_execz .LBB6_276
; %bb.251:                              ;   in Loop: Header=BB6_59 Depth=1
	v_and_b32_e32 v0, 7, v32
	v_mul_lo_u32 v12, v0, v62
	v_ashrrev_i32_e32 v13, 31, v12
	v_mov_b32_e32 v11, v32
	v_add_co_u32_e64 v25, vcc, 0, 0
	v_addc_co_u32_e32 v11, vcc, 1, v11, vcc
	v_lshlrev_b64 v[12:13], 4, v[12:13]
	v_accvgpr_read_b32 v0, a21
	v_add_co_u32_e32 v14, vcc, v0, v12
	v_accvgpr_read_b32 v0, a22
	v_addc_co_u32_e32 v15, vcc, v0, v13, vcc
	s_mov_b64 s[44:45], 0
	v_pk_mov_b32 v[16:17], v[60:61], v[60:61] op_sel:[0,1]
	v_mov_b32_e32 v28, v3
	v_pk_mov_b32 v[20:21], v[56:57], v[56:57] op_sel:[0,1]
	v_mov_b32_e32 v0, v22
	s_branch .LBB6_253
.LBB6_252:                              ;   in Loop: Header=BB6_253 Depth=2
	v_add_co_u32_e32 v20, vcc, v20, v44
	v_addc_co_u32_e32 v21, vcc, v21, v45, vcc
	v_add_co_u32_e32 v16, vcc, v16, v44
	v_sub_u32_e32 v1, v1, v44
	v_addc_co_u32_e32 v17, vcc, v17, v45, vcc
	v_cmp_gt_i32_e32 vcc, 1, v1
	s_or_b64 s[44:45], vcc, s[44:45]
	v_add_co_u32_e32 v14, vcc, v14, v46
	v_add_u32_e32 v0, v0, v2
	v_add_u32_e32 v28, v28, v24
	v_addc_co_u32_e32 v15, vcc, v15, v47, vcc
	s_andn2_b64 exec, exec, s[44:45]
	s_cbranch_execz .LBB6_275
.LBB6_253:                              ;   Parent Loop BB6_59 Depth=1
                                        ; =>  This Inner Loop Header: Depth=2
	v_add_co_u32_e32 v18, vcc, v42, v20
	v_addc_co_u32_e32 v13, vcc, v43, v21, vcc
	v_and_b32_e32 v12, -4, v18
	global_load_dword v10, v[12:13], off glc slc
	v_min_u32_e32 v19, 8, v1
	v_and_b32_e32 v18, 3, v18
	v_add_co_u32_e32 v36, vcc, v18, v19
	v_addc_co_u32_e64 v37, s[20:21], 0, 0, vcc
	v_mov_b32_e32 v29, 0
	v_cmp_lt_u64_e32 vcc, 4, v[36:37]
	v_mov_b32_e32 v31, 0
	s_and_saveexec_b64 s[20:21], vcc
	s_cbranch_execz .LBB6_255
; %bb.254:                              ;   in Loop: Header=BB6_253 Depth=2
	global_load_dword v31, v[12:13], off offset:4 glc slc
.LBB6_255:                              ;   in Loop: Header=BB6_253 Depth=2
	s_or_b64 exec, exec, s[20:21]
	v_cmp_lt_u64_e32 vcc, 8, v[36:37]
	s_and_saveexec_b64 s[20:21], vcc
	s_cbranch_execz .LBB6_257
; %bb.256:                              ;   in Loop: Header=BB6_253 Depth=2
	global_load_dword v29, v[12:13], off offset:8 glc slc
.LBB6_257:                              ;   in Loop: Header=BB6_253 Depth=2
	s_or_b64 exec, exec, s[20:21]
	v_add_co_u32_e32 v36, vcc, v16, v42
	v_addc_co_u32_e32 v37, vcc, v17, v43, vcc
	s_waitcnt vmcnt(0)
	v_alignbit_b32 v54, v31, v10, v28
	v_alignbit_b32 v55, v29, v31, v28
	v_or_b32_e32 v10, v25, v54
	v_or_b32_e32 v12, v25, v55
	v_mov_b32_e32 v13, v11
	v_cmp_lt_u32_e32 vcc, 7, v1
	global_store_dwordx4 v[14:15], v[10:13], off
	s_nop 0
	v_cndmask_b32_e64 v10, 0, 1, vcc
	;;#ASMSTART
	;;#ASMEND
	v_cmp_ne_u32_e64 s[20:21], 0, v10
	s_cmp_lg_u64 s[20:21], exec
	s_mov_b64 s[20:21], -1
	s_cbranch_scc0 .LBB6_267
; %bb.258:                              ;   in Loop: Header=BB6_253 Depth=2
	v_cmp_ne_u32_e64 s[20:21], 1, v1
	flat_store_byte v[36:37], v54
	s_and_saveexec_b64 s[46:47], s[20:21]
	s_cbranch_execnz .LBB6_269
; %bb.259:                              ;   in Loop: Header=BB6_253 Depth=2
	s_or_b64 exec, exec, s[46:47]
	v_cmp_lt_u32_e64 s[20:21], 2, v1
	s_and_saveexec_b64 s[46:47], s[20:21]
	s_cbranch_execnz .LBB6_270
.LBB6_260:                              ;   in Loop: Header=BB6_253 Depth=2
	s_or_b64 exec, exec, s[46:47]
	v_cmp_lt_u32_e64 s[20:21], 3, v1
	s_and_saveexec_b64 s[46:47], s[20:21]
	s_cbranch_execnz .LBB6_271
.LBB6_261:                              ;   in Loop: Header=BB6_253 Depth=2
	s_or_b64 exec, exec, s[46:47]
	v_cmp_lt_u32_e64 s[20:21], 4, v1
	s_and_saveexec_b64 s[46:47], s[20:21]
	s_cbranch_execnz .LBB6_272
.LBB6_262:                              ;   in Loop: Header=BB6_253 Depth=2
	s_or_b64 exec, exec, s[46:47]
	v_cmp_lt_u32_e64 s[20:21], 5, v1
	s_and_saveexec_b64 s[46:47], s[20:21]
	s_cbranch_execnz .LBB6_273
.LBB6_263:                              ;   in Loop: Header=BB6_253 Depth=2
	s_or_b64 exec, exec, s[46:47]
	v_cmp_lt_u32_e64 s[20:21], 6, v1
	s_and_saveexec_b64 s[46:47], s[20:21]
	s_cbranch_execnz .LBB6_274
.LBB6_264:                              ;   in Loop: Header=BB6_253 Depth=2
	s_or_b64 exec, exec, s[46:47]
	s_and_saveexec_b64 s[20:21], vcc
	s_cbranch_execz .LBB6_266
.LBB6_265:                              ;   in Loop: Header=BB6_253 Depth=2
	v_lshrrev_b32_e32 v10, 24, v55
	flat_store_byte v[36:37], v10 offset:7
.LBB6_266:                              ;   in Loop: Header=BB6_253 Depth=2
	s_or_b64 exec, exec, s[20:21]
	s_mov_b64 s[20:21], 0
.LBB6_267:                              ;   in Loop: Header=BB6_253 Depth=2
	s_and_b64 vcc, exec, s[20:21]
	s_cbranch_vccz .LBB6_252
; %bb.268:                              ;   in Loop: Header=BB6_253 Depth=2
	global_store_dwordx2 v[36:37], v[54:55], off
	s_branch .LBB6_252
.LBB6_269:                              ;   in Loop: Header=BB6_253 Depth=2
	v_lshrrev_b32_e32 v10, 8, v54
	flat_store_byte v[36:37], v10 offset:1
	s_or_b64 exec, exec, s[46:47]
	v_cmp_lt_u32_e64 s[20:21], 2, v1
	s_and_saveexec_b64 s[46:47], s[20:21]
	s_cbranch_execz .LBB6_260
.LBB6_270:                              ;   in Loop: Header=BB6_253 Depth=2
	flat_store_byte_d16_hi v[36:37], v54 offset:2
	s_or_b64 exec, exec, s[46:47]
	v_cmp_lt_u32_e64 s[20:21], 3, v1
	s_and_saveexec_b64 s[46:47], s[20:21]
	s_cbranch_execz .LBB6_261
.LBB6_271:                              ;   in Loop: Header=BB6_253 Depth=2
	v_lshrrev_b32_e32 v10, 24, v54
	flat_store_byte v[36:37], v10 offset:3
	s_or_b64 exec, exec, s[46:47]
	v_cmp_lt_u32_e64 s[20:21], 4, v1
	s_and_saveexec_b64 s[46:47], s[20:21]
	s_cbranch_execz .LBB6_262
.LBB6_272:                              ;   in Loop: Header=BB6_253 Depth=2
	flat_store_byte v[36:37], v55 offset:4
	s_or_b64 exec, exec, s[46:47]
	v_cmp_lt_u32_e64 s[20:21], 5, v1
	s_and_saveexec_b64 s[46:47], s[20:21]
	s_cbranch_execz .LBB6_263
.LBB6_273:                              ;   in Loop: Header=BB6_253 Depth=2
	v_lshrrev_b32_e32 v10, 8, v55
	flat_store_byte v[36:37], v10 offset:5
	s_or_b64 exec, exec, s[46:47]
	v_cmp_lt_u32_e64 s[20:21], 6, v1
	s_and_saveexec_b64 s[46:47], s[20:21]
	s_cbranch_execz .LBB6_264
.LBB6_274:                              ;   in Loop: Header=BB6_253 Depth=2
	flat_store_byte_d16_hi v[36:37], v55 offset:6
	s_or_b64 exec, exec, s[46:47]
	s_and_saveexec_b64 s[20:21], vcc
	s_cbranch_execnz .LBB6_265
	s_branch .LBB6_266
.LBB6_275:                              ;   in Loop: Header=BB6_59 Depth=1
	s_or_b64 exec, exec, s[44:45]
	v_accvgpr_read_b32 v19, a15
	v_accvgpr_read_b32 v18, a14
	;; [unrolled: 1-line block ×3, first 2 shown]
.LBB6_276:                              ;   in Loop: Header=BB6_59 Depth=1
	s_or_b64 exec, exec, s[42:43]
	v_and_b32_e32 v52, 0x7ffffff8, v32
	v_cmp_eq_u64_e32 vcc, s[36:37], v[52:53]
	v_cmp_gt_i32_e64 s[20:21], v62, v0
	s_and_b64 s[20:21], vcc, s[20:21]
	s_and_saveexec_b64 s[42:43], s[20:21]
	s_cbranch_execz .LBB6_279
; %bb.277:                              ;   in Loop: Header=BB6_59 Depth=1
	v_and_b32_e32 v1, 7, v32
	v_mul_lo_u32 v12, v1, v62
	v_mov_b32_e32 v1, v32
	v_add_co_u32_e64 v10, vcc, 0, 0
	v_ashrrev_i32_e32 v13, 31, v12
	v_addc_co_u32_e32 v11, vcc, 1, v1, vcc
	v_ashrrev_i32_e32 v1, 31, v0
	v_lshlrev_b64 v[14:15], 4, v[0:1]
	v_lshlrev_b64 v[12:13], 4, v[12:13]
	v_add_co_u32_e32 v1, vcc, v14, v12
	v_addc_co_u32_e32 v12, vcc, v15, v13, vcc
	v_accvgpr_read_b32 v15, a11
	v_accvgpr_read_b32 v14, a10
	v_add_co_u32_e32 v14, vcc, v14, v1
	v_addc_co_u32_e32 v15, vcc, v15, v12, vcc
	s_mov_b64 s[44:45], 0
.LBB6_278:                              ;   Parent Loop BB6_59 Depth=1
                                        ; =>  This Inner Loop Header: Depth=2
	v_mov_b32_e32 v12, v10
	v_mov_b32_e32 v13, v11
	v_add_u32_e32 v0, v0, v2
	global_store_dwordx4 v[14:15], v[10:13], off
	v_cmp_ge_i32_e32 vcc, v0, v62
	v_add_co_u32_e64 v14, s[20:21], v14, v46
	s_or_b64 s[44:45], vcc, s[44:45]
	v_addc_co_u32_e64 v15, vcc, v15, v47, s[20:21]
	s_andn2_b64 exec, exec, s[44:45]
	s_cbranch_execnz .LBB6_278
.LBB6_279:                              ;   in Loop: Header=BB6_59 Depth=1
	s_or_b64 exec, exec, s[42:43]
	v_add_co_u32_e32 v32, vcc, 1, v32
	v_addc_co_u32_e32 v33, vcc, 0, v33, vcc
                                        ; implicit-def: $vgpr11
                                        ; implicit-def: $vgpr10
.LBB6_280:                              ;   in Loop: Header=BB6_59 Depth=1
	s_andn2_saveexec_b64 s[40:41], s[40:41]
	s_cbranch_execz .LBB6_57
; %bb.281:                              ;   in Loop: Header=BB6_59 Depth=1
	s_and_saveexec_b64 s[20:21], s[10:11]
	s_cbranch_execz .LBB6_297
; %bb.282:                              ;   in Loop: Header=BB6_59 Depth=1
	v_add_co_u32_e32 v0, vcc, 1, v8
	v_addc_co_u32_e32 v1, vcc, 0, v9, vcc
	s_waitcnt vmcnt(0) lgkmcnt(0)
	v_add_co_u32_e32 v12, vcc, 8, v48
	v_addc_co_u32_e32 v13, vcc, 0, v49, vcc
	v_cmp_lt_u64_e32 vcc, v[12:13], v[0:1]
	s_and_saveexec_b64 s[42:43], vcc
	s_cbranch_execz .LBB6_294
; %bb.283:                              ;   in Loop: Header=BB6_59 Depth=1
	s_sleep 1
	flat_load_dwordx2 v[48:49], v[38:39] glc
	v_cmp_eq_u32_e32 vcc, 0, v23
	s_and_saveexec_b64 s[44:45], vcc
	s_cbranch_execz .LBB6_293
; %bb.284:                              ;   in Loop: Header=BB6_59 Depth=1
	v_cndmask_b32_e64 v9, 0, 1, vcc
	s_mov_b64 s[46:47], 0
                                        ; implicit-def: $sgpr48_sgpr49
	s_branch .LBB6_288
.LBB6_285:                              ;   in Loop: Header=BB6_288 Depth=2
	s_or_b64 exec, exec, s[56:57]
	s_orn2_b64 s[54:55], s[54:55], exec
.LBB6_286:                              ;   in Loop: Header=BB6_288 Depth=2
	s_or_b64 exec, exec, s[52:53]
	s_xor_b64 vcc, s[54:55], -1
	s_andn2_b64 s[48:49], s[48:49], exec
	s_and_b64 vcc, vcc, exec
	s_or_b64 s[48:49], s[48:49], vcc
.LBB6_287:                              ;   in Loop: Header=BB6_288 Depth=2
	s_or_b64 exec, exec, s[50:51]
	s_and_b64 vcc, exec, s[48:49]
	s_or_b64 s[46:47], vcc, s[46:47]
	s_andn2_b64 exec, exec, s[46:47]
	s_cbranch_execz .LBB6_292
.LBB6_288:                              ;   Parent Loop BB6_59 Depth=1
                                        ; =>  This Inner Loop Header: Depth=2
	s_waitcnt vmcnt(0) lgkmcnt(0)
	v_add_co_u32_e32 v12, vcc, 8, v48
	v_addc_co_u32_e32 v13, vcc, 0, v49, vcc
	v_cmp_lt_u64_e32 vcc, v[12:13], v[0:1]
	v_mov_b32_e32 v23, 0
	s_or_b64 s[48:49], s[48:49], exec
	s_and_saveexec_b64 s[50:51], vcc
	s_cbranch_execz .LBB6_287
; %bb.289:                              ;   in Loop: Header=BB6_288 Depth=2
	s_sleep 1
	flat_load_dwordx2 v[48:49], v[38:39] glc
	v_add_u32_e32 v9, 1, v9
	v_cmp_eq_u32_e32 vcc, s58, v9
	s_mov_b64 s[54:55], -1
	v_mov_b32_e32 v23, 0
	s_and_saveexec_b64 s[52:53], vcc
	s_cbranch_execz .LBB6_286
; %bb.290:                              ;   in Loop: Header=BB6_288 Depth=2
	s_trap 2
	ds_read_b64 v[12:13], v0
	v_mov_b32_e32 v9, 0
	v_mov_b32_e32 v23, 0
	s_waitcnt vmcnt(0) lgkmcnt(0)
	flat_load_dword v12, v[12:13] glc
	s_waitcnt vmcnt(0) lgkmcnt(0)
	buffer_invl2
	buffer_wbinvl1_vol
	v_cmp_ne_u32_e32 vcc, 0, v12
	s_and_saveexec_b64 s[56:57], vcc
	s_cbranch_execz .LBB6_285
; %bb.291:                              ;   in Loop: Header=BB6_288 Depth=2
	v_mov_b32_e32 v23, 1
	s_xor_b64 s[54:55], exec, -1
	ds_write_b32 v0, v12
	s_trap 2
	s_branch .LBB6_285
.LBB6_292:                              ;   in Loop: Header=BB6_59 Depth=1
	s_or_b64 exec, exec, s[46:47]
.LBB6_293:                              ;   in Loop: Header=BB6_59 Depth=1
	s_or_b64 exec, exec, s[44:45]
.LBB6_294:                              ;   in Loop: Header=BB6_59 Depth=1
	s_or_b64 exec, exec, s[42:43]
	s_and_saveexec_b64 s[42:43], s[12:13]
	s_cbranch_execz .LBB6_296
; %bb.295:                              ;   in Loop: Header=BB6_59 Depth=1
	v_and_b32_e32 v52, 0x7ffffff8, v8
	v_cmp_eq_u64_e32 vcc, s[36:37], v[52:53]
	v_cndmask_b32_e32 v9, v11, v62, vcc
	v_lshlrev_b32_e32 v12, 4, v9
	v_and_b32_e32 v8, 7, v8
	v_ashrrev_i32_e32 v13, 31, v12
	v_mad_u64_u32 v[8:9], vcc, v8, 24, v[6:7]
	flat_store_dwordx2 v[8:9], v[12:13] offset:8
	s_waitcnt vmcnt(0)
.LBB6_296:                              ;   in Loop: Header=BB6_59 Depth=1
	s_or_b64 exec, exec, s[42:43]
	v_pk_mov_b32 v[8:9], v[0:1], v[0:1] op_sel:[0,1]
.LBB6_297:                              ;   in Loop: Header=BB6_59 Depth=1
	s_or_b64 exec, exec, s[20:21]
	s_and_saveexec_b64 s[20:21], s[14:15]
	s_cbranch_execz .LBB6_316
; %bb.298:                              ;   in Loop: Header=BB6_59 Depth=1
	s_and_saveexec_b64 vcc, s[30:31]
	s_xor_b64 s[42:43], exec, vcc
	s_cbranch_execz .LBB6_313
; %bb.299:                              ;   in Loop: Header=BB6_59 Depth=1
	s_and_saveexec_b64 s[44:45], s[16:17]
	s_cbranch_execz .LBB6_312
; %bb.300:                              ;   in Loop: Header=BB6_59 Depth=1
	s_mov_b64 s[48:49], exec
	v_mbcnt_lo_u32_b32 v0, s48, 0
	v_mbcnt_hi_u32_b32 v0, s49, v0
	v_cmp_eq_u32_e32 vcc, 0, v0
	s_waitcnt vmcnt(0) lgkmcnt(0)
	buffer_wbinvl1_vol
	s_and_saveexec_b64 s[46:47], vcc
	s_cbranch_execz .LBB6_302
; %bb.301:                              ;   in Loop: Header=BB6_59 Depth=1
	s_bcnt1_i32_b64 vcc_lo, s[48:49]
	v_mov_b32_e32 v52, vcc_lo
	ds_add_u64 v0, v[52:53]
	s_trap 2
.LBB6_302:                              ;   in Loop: Header=BB6_59 Depth=1
	s_or_b64 exec, exec, s[46:47]
	s_trap 2
	ds_read_b64 v[0:1], v0
	v_accvgpr_read_b32 v12, a16
	v_add_co_u32_e32 v40, vcc, v40, v12
	v_accvgpr_read_b32 v11, a17
	v_addc_co_u32_e32 v41, vcc, v41, v11, vcc
	s_waitcnt lgkmcnt(0)
	v_cmp_lt_u64_e32 vcc, v[0:1], v[40:41]
	s_and_saveexec_b64 s[46:47], vcc
	s_cbranch_execz .LBB6_311
; %bb.303:                              ;   in Loop: Header=BB6_59 Depth=1
	s_mov_b32 s59, 0
	s_mov_b64 s[48:49], 0
                                        ; implicit-def: $sgpr50_sgpr51
                                        ; implicit-def: $sgpr52_sgpr53
	s_branch .LBB6_305
.LBB6_304:                              ;   in Loop: Header=BB6_305 Depth=2
	s_or_b64 exec, exec, s[56:57]
	s_and_b64 vcc, exec, vcc
	s_or_b64 s[48:49], vcc, s[48:49]
	s_andn2_b64 vcc, s[50:51], exec
	s_and_b64 s[50:51], s[52:53], exec
	s_or_b64 s[50:51], vcc, s[50:51]
	s_andn2_b64 exec, exec, s[48:49]
	s_cbranch_execz .LBB6_309
.LBB6_305:                              ;   Parent Loop BB6_59 Depth=1
                                        ; =>  This Inner Loop Header: Depth=2
	s_add_i32 s59, s59, 1
	s_cmpk_lg_i32 s59, 0x2710
	s_cselect_b64 s[54:55], -1, 0
	s_and_b64 vcc, exec, s[54:55]
                                        ; implicit-def: $sgpr56_sgpr57
	s_cbranch_vccnz .LBB6_307
; %bb.306:                              ;   in Loop: Header=BB6_305 Depth=2
	s_trap 2
	ds_read_b64 v[0:1], v0
	s_andn2_b64 s[54:55], s[54:55], exec
	s_mov_b32 s59, 0
	s_mov_b64 s[56:57], -1
	s_waitcnt lgkmcnt(0)
	flat_load_dword v0, v[0:1] glc
	s_waitcnt vmcnt(0) lgkmcnt(0)
	buffer_invl2
	buffer_wbinvl1_vol
	v_cmp_eq_u32_e32 vcc, 0, v0
	s_and_b64 vcc, vcc, exec
	s_or_b64 s[54:55], s[54:55], vcc
.LBB6_307:                              ;   in Loop: Header=BB6_305 Depth=2
	s_andn2_b64 s[52:53], s[52:53], exec
	s_and_b64 s[56:57], s[56:57], exec
	s_mov_b64 vcc, -1
	s_or_b64 s[52:53], s[52:53], s[56:57]
	s_and_saveexec_b64 s[56:57], s[54:55]
	s_cbranch_execz .LBB6_304
; %bb.308:                              ;   in Loop: Header=BB6_305 Depth=2
	s_sleep 1
	s_trap 2
	ds_read_b64 v[0:1], v0
	s_andn2_b64 s[52:53], s[52:53], exec
	s_waitcnt lgkmcnt(0)
	v_cmp_ge_u64_e32 vcc, v[0:1], v[40:41]
	s_orn2_b64 vcc, vcc, exec
	s_branch .LBB6_304
.LBB6_309:                              ;   in Loop: Header=BB6_59 Depth=1
	s_or_b64 exec, exec, s[48:49]
	s_and_saveexec_b64 vcc, s[50:51]
	s_xor_b64 vcc, exec, vcc
	s_cbranch_execz .LBB6_311
; %bb.310:                              ;   in Loop: Header=BB6_59 Depth=1
	v_mov_b32_e32 v0, 1
	ds_write_b32 v0, v0
	s_trap 2
.LBB6_311:                              ;   in Loop: Header=BB6_59 Depth=1
	s_or_b64 exec, exec, s[46:47]
	;;#ASMSTART
	s_wakeup
	;;#ASMEND
.LBB6_312:                              ;   in Loop: Header=BB6_59 Depth=1
	s_or_b64 exec, exec, s[44:45]
.LBB6_313:                              ;   in Loop: Header=BB6_59 Depth=1
	s_andn2_saveexec_b64 vcc, s[42:43]
	s_cbranch_execz .LBB6_315
; %bb.314:                              ;   in Loop: Header=BB6_59 Depth=1
	s_waitcnt vmcnt(0) lgkmcnt(0)
	buffer_wbinvl1_vol
	s_barrier
.LBB6_315:                              ;   in Loop: Header=BB6_59 Depth=1
	s_or_b64 exec, exec, vcc
.LBB6_316:                              ;   in Loop: Header=BB6_59 Depth=1
	s_or_b64 exec, exec, s[20:21]
	v_sub_u32_e32 v25, v10, v42
	v_cmp_lt_i32_e32 vcc, 0, v25
	v_and_b32_e32 v1, 7, v32
	v_mov_b32_e32 v0, v22
	s_and_saveexec_b64 s[20:21], vcc
	s_cbranch_execz .LBB6_324
; %bb.317:                              ;   in Loop: Header=BB6_59 Depth=1
	v_mul_lo_u32 v12, v1, v62
	v_ashrrev_i32_e32 v13, 31, v12
	v_mov_b32_e32 v11, v32
	v_add_co_u32_e64 v28, vcc, 0, 0
	v_addc_co_u32_e32 v11, vcc, 1, v11, vcc
	v_lshlrev_b64 v[12:13], 4, v[12:13]
	v_accvgpr_read_b32 v0, a21
	v_add_co_u32_e32 v14, vcc, v0, v12
	v_accvgpr_read_b32 v0, a22
	v_addc_co_u32_e32 v15, vcc, v0, v13, vcc
	s_mov_b64 s[42:43], 0
	v_mov_b32_e32 v29, v3
	v_pk_mov_b32 v[16:17], v[58:59], v[58:59] op_sel:[0,1]
	v_mov_b32_e32 v0, v22
	s_branch .LBB6_319
.LBB6_318:                              ;   in Loop: Header=BB6_319 Depth=2
	s_or_b64 exec, exec, s[44:45]
	v_add_co_u32_e32 v16, vcc, v16, v44
	s_waitcnt vmcnt(0)
	v_alignbit_b32 v10, v36, v10, v29
	v_alignbit_b32 v12, v31, v36, v29
	v_sub_u32_e32 v25, v25, v44
	v_addc_co_u32_e32 v17, vcc, v17, v45, vcc
	v_or_b32_e32 v10, v28, v10
	v_or_b32_e32 v12, v28, v12
	v_mov_b32_e32 v13, v11
	v_cmp_gt_i32_e32 vcc, 1, v25
	global_store_dwordx4 v[14:15], v[10:13], off
	s_or_b64 s[42:43], vcc, s[42:43]
	v_add_co_u32_e32 v14, vcc, v14, v46
	v_add_u32_e32 v0, v0, v2
	v_add_u32_e32 v29, v29, v24
	v_addc_co_u32_e32 v15, vcc, v15, v47, vcc
	s_andn2_b64 exec, exec, s[42:43]
	s_cbranch_execz .LBB6_323
.LBB6_319:                              ;   Parent Loop BB6_59 Depth=1
                                        ; =>  This Inner Loop Header: Depth=2
	v_and_b32_e32 v12, -4, v16
	v_mov_b32_e32 v13, v17
	global_load_dword v10, v[12:13], off glc slc
	v_min_u32_e32 v18, 8, v25
	v_and_b32_e32 v19, 3, v16
	v_add_co_u32_e32 v20, vcc, v19, v18
	v_addc_co_u32_e64 v21, vcc, 0, 0, vcc
	v_mov_b32_e32 v31, 0
	v_cmp_lt_u64_e32 vcc, 4, v[20:21]
	v_mov_b32_e32 v36, 0
	s_and_saveexec_b64 s[44:45], vcc
	s_cbranch_execz .LBB6_321
; %bb.320:                              ;   in Loop: Header=BB6_319 Depth=2
	global_load_dword v36, v[12:13], off offset:4 glc slc
.LBB6_321:                              ;   in Loop: Header=BB6_319 Depth=2
	s_or_b64 exec, exec, s[44:45]
	v_cmp_lt_u64_e32 vcc, 8, v[20:21]
	s_and_saveexec_b64 s[44:45], vcc
	s_cbranch_execz .LBB6_318
; %bb.322:                              ;   in Loop: Header=BB6_319 Depth=2
	global_load_dword v31, v[12:13], off offset:8 glc slc
	s_branch .LBB6_318
.LBB6_323:                              ;   in Loop: Header=BB6_59 Depth=1
	s_or_b64 exec, exec, s[42:43]
	v_accvgpr_read_b32 v19, a15
	v_accvgpr_read_b32 v18, a14
	;; [unrolled: 1-line block ×3, first 2 shown]
.LBB6_324:                              ;   in Loop: Header=BB6_59 Depth=1
	s_or_b64 exec, exec, s[20:21]
	v_and_b32_e32 v52, 0x7ffffff8, v32
	v_cmp_eq_u64_e32 vcc, s[36:37], v[52:53]
	v_cmp_gt_i32_e64 s[20:21], v62, v0
	s_and_b64 s[20:21], vcc, s[20:21]
	s_and_saveexec_b64 s[42:43], s[20:21]
	s_cbranch_execz .LBB6_56
; %bb.325:                              ;   in Loop: Header=BB6_59 Depth=1
	v_mul_lo_u32 v12, v1, v62
	v_mov_b32_e32 v1, v32
	v_add_co_u32_e64 v10, vcc, 0, 0
	v_ashrrev_i32_e32 v13, 31, v12
	v_addc_co_u32_e32 v11, vcc, 1, v1, vcc
	v_ashrrev_i32_e32 v1, 31, v0
	v_lshlrev_b64 v[14:15], 4, v[0:1]
	v_lshlrev_b64 v[12:13], 4, v[12:13]
	v_add_co_u32_e32 v1, vcc, v14, v12
	v_addc_co_u32_e32 v12, vcc, v15, v13, vcc
	v_accvgpr_read_b32 v15, a11
	v_accvgpr_read_b32 v14, a10
	v_add_co_u32_e32 v14, vcc, v14, v1
	v_addc_co_u32_e32 v15, vcc, v15, v12, vcc
	s_mov_b64 s[44:45], 0
.LBB6_326:                              ;   Parent Loop BB6_59 Depth=1
                                        ; =>  This Inner Loop Header: Depth=2
	v_mov_b32_e32 v12, v10
	v_mov_b32_e32 v13, v11
	v_add_u32_e32 v0, v0, v2
	global_store_dwordx4 v[14:15], v[10:13], off
	v_cmp_ge_i32_e32 vcc, v0, v62
	v_add_co_u32_e64 v14, s[20:21], v14, v46
	s_or_b64 s[44:45], vcc, s[44:45]
	v_addc_co_u32_e64 v15, vcc, v15, v47, s[20:21]
	s_andn2_b64 exec, exec, s[44:45]
	s_cbranch_execnz .LBB6_326
	s_branch .LBB6_56
.LBB6_327:
	s_or_b64 exec, exec, s[28:29]
	v_accvgpr_read_b32 v19, a5
	v_accvgpr_read_b32 v25, a7
	;; [unrolled: 1-line block ×6, first 2 shown]
	s_or_b64 exec, exec, s[26:27]
	s_and_saveexec_b64 s[6:7], s[24:25]
	s_cbranch_execz .LBB6_53
.LBB6_328:
	s_waitcnt lgkmcnt(0)
	flat_store_dwordx2 v[24:25], v[34:35] offset:104
	s_or_b64 exec, exec, s[6:7]
	s_and_saveexec_b64 s[6:7], s[4:5]
	s_cbranch_execz .LBB6_54
.LBB6_329:
	s_waitcnt lgkmcnt(0)
	flat_store_dwordx2 v[18:19], v[8:9] offset:104
	s_or_b64 exec, exec, s[6:7]
	v_cmp_ne_u32_e32 vcc, 64, v2
	s_and_saveexec_b64 s[4:5], vcc
	s_cbranch_execz .LBB6_347
.LBB6_330:
	v_cmp_ne_u32_sdwa s[6:7], v2, v17 src0_sel:DWORD src1_sel:WORD_0
	s_and_saveexec_b64 s[8:9], s[6:7]
	s_xor_b64 s[6:7], exec, s[8:9]
	s_cbranch_execz .LBB6_345
; %bb.331:
	v_and_b32_e32 v0, 63, v31
	v_cmp_eq_u32_e32 vcc, 0, v0
	s_and_saveexec_b64 s[8:9], vcc
	s_cbranch_execz .LBB6_344
; %bb.332:
	s_mov_b64 s[12:13], exec
	v_mbcnt_lo_u32_b32 v0, s12, 0
	v_mbcnt_hi_u32_b32 v0, s13, v0
	v_cmp_eq_u32_e32 vcc, 0, v0
	s_waitcnt vmcnt(0) lgkmcnt(0)
	buffer_wbinvl1_vol
	s_and_saveexec_b64 s[10:11], vcc
	s_cbranch_execz .LBB6_334
; %bb.333:
	s_bcnt1_i32_b64 s12, s[12:13]
	v_mov_b32_e32 v0, s12
	v_mov_b32_e32 v1, 0
	ds_add_u64 v0, v[0:1]
	s_trap 2
.LBB6_334:
	s_or_b64 exec, exec, s[10:11]
	v_ashrrev_i32_e32 v0, 31, v2
	v_lshrrev_b32_e32 v0, 26, v0
	v_add_u32_e32 v0, v2, v0
	v_ashrrev_i32_e32 v0, 6, v0
	s_trap 2
	ds_read_b64 v[2:3], v0
	v_ashrrev_i32_e32 v1, 31, v0
	v_add_co_u32_e32 v0, vcc, v40, v0
	v_addc_co_u32_e32 v1, vcc, v41, v1, vcc
	s_waitcnt lgkmcnt(0)
	v_cmp_lt_u64_e32 vcc, v[2:3], v[0:1]
	s_and_saveexec_b64 s[10:11], vcc
	s_cbranch_execz .LBB6_343
; %bb.335:
	s_mov_b32 s26, 0
	s_mov_b64 s[12:13], 0
                                        ; implicit-def: $sgpr14_sgpr15
                                        ; implicit-def: $sgpr16_sgpr17
	s_branch .LBB6_337
.LBB6_336:                              ;   in Loop: Header=BB6_337 Depth=1
	s_or_b64 exec, exec, s[24:25]
	s_and_b64 s[18:19], exec, s[20:21]
	s_or_b64 s[12:13], s[18:19], s[12:13]
	s_andn2_b64 s[14:15], s[14:15], exec
	s_and_b64 s[18:19], s[16:17], exec
	s_or_b64 s[14:15], s[14:15], s[18:19]
	s_andn2_b64 exec, exec, s[12:13]
	s_cbranch_execz .LBB6_341
.LBB6_337:                              ; =>This Inner Loop Header: Depth=1
	s_add_i32 s26, s26, 1
	s_cmpk_lg_i32 s26, 0x2710
	s_cselect_b64 s[18:19], -1, 0
	s_and_b64 vcc, exec, s[18:19]
                                        ; implicit-def: $sgpr24_sgpr25
	s_cbranch_vccnz .LBB6_339
; %bb.338:                              ;   in Loop: Header=BB6_337 Depth=1
	s_trap 2
	ds_read_b64 v[2:3], v0
	s_andn2_b64 s[18:19], s[18:19], exec
	s_mov_b32 s26, 0
	s_mov_b64 s[24:25], -1
	s_waitcnt lgkmcnt(0)
	flat_load_dword v2, v[2:3] glc
	s_waitcnt vmcnt(0) lgkmcnt(0)
	buffer_invl2
	buffer_wbinvl1_vol
	v_cmp_eq_u32_e32 vcc, 0, v2
	s_and_b64 s[20:21], vcc, exec
	s_or_b64 s[18:19], s[18:19], s[20:21]
.LBB6_339:                              ;   in Loop: Header=BB6_337 Depth=1
	s_andn2_b64 s[16:17], s[16:17], exec
	s_and_b64 s[24:25], s[24:25], exec
	s_mov_b64 s[20:21], -1
	s_or_b64 s[16:17], s[16:17], s[24:25]
	s_and_saveexec_b64 s[24:25], s[18:19]
	s_cbranch_execz .LBB6_336
; %bb.340:                              ;   in Loop: Header=BB6_337 Depth=1
	s_sleep 1
	s_trap 2
	ds_read_b64 v[2:3], v0
	s_andn2_b64 s[16:17], s[16:17], exec
	s_waitcnt lgkmcnt(0)
	v_cmp_ge_u64_e32 vcc, v[2:3], v[0:1]
	s_orn2_b64 s[20:21], vcc, exec
	s_branch .LBB6_336
.LBB6_341:
	s_or_b64 exec, exec, s[12:13]
	s_and_saveexec_b64 s[12:13], s[14:15]
	s_xor_b64 s[12:13], exec, s[12:13]
	s_cbranch_execz .LBB6_343
; %bb.342:
	v_mov_b32_e32 v0, 1
	ds_write_b32 v0, v0
	s_trap 2
.LBB6_343:
	s_or_b64 exec, exec, s[10:11]
	;;#ASMSTART
	s_wakeup
	;;#ASMEND
.LBB6_344:
	s_or_b64 exec, exec, s[8:9]
.LBB6_345:
	s_andn2_saveexec_b64 s[6:7], s[6:7]
	s_cbranch_execz .LBB6_347
; %bb.346:
	s_waitcnt vmcnt(0) lgkmcnt(0)
	buffer_wbinvl1_vol
	s_barrier
.LBB6_347:
	s_or_b64 exec, exec, s[4:5]
.LBB6_348:
	s_or_b64 exec, exec, s[22:23]
	buffer_load_dword v62, off, s[0:3], s32 ; 4-byte Folded Reload
	buffer_load_dword v61, off, s[0:3], s32 offset:4 ; 4-byte Folded Reload
	buffer_load_dword v60, off, s[0:3], s32 offset:8 ; 4-byte Folded Reload
	buffer_load_dword v59, off, s[0:3], s32 offset:12 ; 4-byte Folded Reload
	buffer_load_dword v58, off, s[0:3], s32 offset:16 ; 4-byte Folded Reload
	buffer_load_dword v57, off, s[0:3], s32 offset:20 ; 4-byte Folded Reload
	v_readlane_b32 s30, v63, 26
	v_readlane_b32 s31, v63, 27
	;; [unrolled: 1-line block ×28, first 2 shown]
	v_accvgpr_read_b32 v56, a31             ;  Reload Reuse
	v_accvgpr_read_b32 v47, a30             ;  Reload Reuse
	;; [unrolled: 1-line block ×9, first 2 shown]
	s_or_saveexec_b64 s[4:5], -1
	buffer_load_dword v63, off, s[0:3], s32 offset:24 ; 4-byte Folded Reload
	s_mov_b64 exec, s[4:5]
	s_waitcnt vmcnt(0) lgkmcnt(0)
	s_setpc_b64 s[30:31]
.Lfunc_end6:
	.size	_ZN12_GLOBAL__N_17runRingIa7FuncSumIaE7ProtoLLLi0ELi2ELi0EEEviiP15ncclDevWorkColl, .Lfunc_end6-_ZN12_GLOBAL__N_17runRingIa7FuncSumIaE7ProtoLLLi0ELi2ELi0EEEviiP15ncclDevWorkColl
                                        ; -- End function
	.section	.AMDGPU.csdata,"",@progbits
; Function info:
; codeLenInByte = 11388
; NumSgprs: 64
; NumVgprs: 64
; NumAgprs: 32
; TotalNumVgprs: 96
; ScratchSize: 32
; MemoryBound: 1
	.text
	.p2align	2                               ; -- Begin function _Z42ncclDevFunc_Broadcast_RING_LL_Sum_i8_0_0_2v
	.type	_Z42ncclDevFunc_Broadcast_RING_LL_Sum_i8_0_0_2v,@function
_Z42ncclDevFunc_Broadcast_RING_LL_Sum_i8_0_0_2v: ; @_Z42ncclDevFunc_Broadcast_RING_LL_Sum_i8_0_0_2v
; %bb.0:
	s_waitcnt vmcnt(0) expcnt(0) lgkmcnt(0)
	s_mov_b32 s4, s33
	s_mov_b32 s33, s32
	s_or_saveexec_b64 s[6:7], -1
	buffer_store_dword v43, off, s[0:3], s33 offset:16 ; 4-byte Folded Spill
	s_mov_b64 exec, s[6:7]
	v_writelane_b32 v43, s4, 36
	s_addk_i32 s32, 0x800
	buffer_store_dword v40, off, s[0:3], s33 offset:12 ; 4-byte Folded Spill
	buffer_store_dword v41, off, s[0:3], s33 offset:8 ; 4-byte Folded Spill
	;; [unrolled: 1-line block ×3, first 2 shown]
	buffer_store_dword v63, off, s[0:3], s33 ; 4-byte Folded Spill
	v_writelane_b32 v43, s34, 0
	v_writelane_b32 v43, s35, 1
	;; [unrolled: 1-line block ×36, first 2 shown]
	s_trap 2
	ds_read_b32 v0, v0
	v_mov_b32_e32 v40, v31
	s_mov_b32 s62, s12
	s_mov_b64 s[60:61], s[8:9]
	s_waitcnt lgkmcnt(0)
	v_cmp_gt_i32_e32 vcc, 1, v0
	s_cbranch_vccnz .LBB7_8
; %bb.1:
	s_mov_b32 s63, 0
	v_and_b32_e32 v41, 0x3ff, v40
	s_mov_b64 s[64:65], src_shared_base
	v_mov_b32_e32 v42, 6
	s_branch .LBB7_3
.LBB7_2:                                ;   in Loop: Header=BB7_3 Depth=1
	s_or_b64 exec, exec, s[66:67]
	s_trap 2
	ds_read_b32 v0, v0
	s_add_i32 s63, s63, 1
	s_waitcnt lgkmcnt(0)
	v_cmp_lt_i32_e32 vcc, s63, v0
	s_cbranch_vccz .LBB7_8
.LBB7_3:                                ; =>This Inner Loop Header: Depth=1
	s_trap 2
	ds_read_b32 v0, v0
	s_cmp_eq_u32 s63, 0
	s_cbranch_scc1 .LBB7_6
; %bb.4:                                ;   in Loop: Header=BB7_3 Depth=1
	s_trap 2
	s_waitcnt lgkmcnt(0)
	ds_read_b32 v1, v0
	s_waitcnt lgkmcnt(0)
	v_xor_b32_e32 v1, v1, v0
	v_and_b32_e32 v1, 0xff0000, v1
	v_cmp_eq_u32_e32 vcc, 0, v1
	s_cbranch_vccnz .LBB7_6
; %bb.5:                                ;   in Loop: Header=BB7_3 Depth=1
	s_barrier
	ds_read_b32 v0, v0
.LBB7_6:                                ;   in Loop: Header=BB7_3 Depth=1
	s_waitcnt lgkmcnt(0)
	v_lshlrev_b32_sdwa v1, v42, v0 dst_sel:DWORD dst_unused:UNUSED_PAD src0_sel:DWORD src1_sel:BYTE_2
	v_cmp_lt_u32_e32 vcc, v41, v1
	s_and_saveexec_b64 s[66:67], vcc
	s_cbranch_execz .LBB7_2
; %bb.7:                                ;   in Loop: Header=BB7_3 Depth=1
	s_mov_b64 s[8:9], s[60:61]
	s_mov_b32 s12, s62
	v_mov_b32_e32 v31, v40
	v_mov_b32_e32 v0, v41
	v_mov_b32_e32 v3, s65
	s_getpc_b64 s[4:5]
	s_add_u32 s4, s4, _ZN12_GLOBAL__N_17runRingIa7FuncSumIaE7ProtoLLLi0ELi2ELi0EEEviiP15ncclDevWorkColl@rel32@lo+4
	s_addc_u32 s5, s5, _ZN12_GLOBAL__N_17runRingIa7FuncSumIaE7ProtoLLLi0ELi2ELi0EEEviiP15ncclDevWorkColl@rel32@hi+12
	s_swappc_b64 s[30:31], s[4:5]
	s_branch .LBB7_2
.LBB7_8:
	buffer_load_dword v63, off, s[0:3], s33 ; 4-byte Folded Reload
	buffer_load_dword v42, off, s[0:3], s33 offset:4 ; 4-byte Folded Reload
	buffer_load_dword v41, off, s[0:3], s33 offset:8 ; 4-byte Folded Reload
	;; [unrolled: 1-line block ×3, first 2 shown]
	v_readlane_b32 s30, v43, 34
	v_readlane_b32 s31, v43, 35
	;; [unrolled: 1-line block ×37, first 2 shown]
	s_or_saveexec_b64 s[6:7], -1
	buffer_load_dword v43, off, s[0:3], s33 offset:16 ; 4-byte Folded Reload
	s_mov_b64 exec, s[6:7]
	s_addk_i32 s32, 0xf800
	s_mov_b32 s33, s4
	s_waitcnt vmcnt(0)
	s_setpc_b64 s[30:31]
.Lfunc_end7:
	.size	_Z42ncclDevFunc_Broadcast_RING_LL_Sum_i8_0_0_2v, .Lfunc_end7-_Z42ncclDevFunc_Broadcast_RING_LL_Sum_i8_0_0_2v
                                        ; -- End function
	.section	.AMDGPU.csdata,"",@progbits
; Function info:
; codeLenInByte = 956
; NumSgprs: 72
; NumVgprs: 64
; NumAgprs: 32
; TotalNumVgprs: 96
; ScratchSize: 64
; MemoryBound: 0
	.text
	.p2align	2                               ; -- Begin function _ZN12_GLOBAL__N_17runRingIa7FuncSumIaE11ProtoSimpleILi1ELi1ELi0ELi2ELi0ELi0EELi0ELi2ELi0EEEviiP15ncclDevWorkColl
	.type	_ZN12_GLOBAL__N_17runRingIa7FuncSumIaE11ProtoSimpleILi1ELi1ELi0ELi2ELi0ELi0EELi0ELi2ELi0EEEviiP15ncclDevWorkColl,@function
_ZN12_GLOBAL__N_17runRingIa7FuncSumIaE11ProtoSimpleILi1ELi1ELi0ELi2ELi0ELi0EELi0ELi2ELi0EEEviiP15ncclDevWorkColl: ; @_ZN12_GLOBAL__N_17runRingIa7FuncSumIaE11ProtoSimpleILi1ELi1ELi0ELi2ELi0ELi0EELi0ELi2ELi0EEEviiP15ncclDevWorkColl
; %bb.0:
	s_waitcnt vmcnt(0) expcnt(0) lgkmcnt(0)
	s_mov_b32 s4, s33
	s_mov_b32 s33, s32
	s_or_saveexec_b64 s[6:7], -1
	buffer_store_dword v63, off, s[0:3], s33 offset:20 ; 4-byte Folded Spill
	s_mov_b64 exec, s[6:7]
	v_writelane_b32 v63, s4, 53
	v_accvgpr_write_b32 a22, v40            ;  Reload Reuse
	s_addk_i32 s32, 0x800
	v_accvgpr_write_b32 a23, v41            ;  Reload Reuse
	v_accvgpr_write_b32 a24, v42            ;  Reload Reuse
	;; [unrolled: 1-line block ×9, first 2 shown]
	buffer_store_dword v58, off, s[0:3], s33 offset:16 ; 4-byte Folded Spill
	buffer_store_dword v59, off, s[0:3], s33 offset:12 ; 4-byte Folded Spill
	;; [unrolled: 1-line block ×4, first 2 shown]
	buffer_store_dword v62, off, s[0:3], s33 ; 4-byte Folded Spill
	v_writelane_b32 v63, s34, 0
	v_writelane_b32 v63, s35, 1
	;; [unrolled: 1-line block ×53, first 2 shown]
	s_trap 2
	ds_read_b64 v[4:5], v0
	flat_load_ushort v9, v[2:3] offset:8
	flat_load_dwordx2 v[18:19], v[2:3]
	ds_read_b32 v6, v0
                                        ; implicit-def: $vgpr36_vgpr37
                                        ; implicit-def: $vgpr16_vgpr17
	s_waitcnt lgkmcnt(0)
	flat_load_dwordx2 v[14:15], v[4:5]
                                        ; implicit-def: $vgpr4_vgpr5
	s_waitcnt vmcnt(0)
	v_mov_b32_e32 v8, v19
	v_cmp_ne_u32_sdwa s[4:5], v18, v6 src0_sel:BYTE_0 src1_sel:DWORD
	s_and_saveexec_b64 s[6:7], s[4:5]
	s_xor_b64 s[4:5], exec, s[6:7]
	s_cbranch_execz .LBB8_6
; %bb.1:
	v_not_b32_sdwa v10, v18 dst_sel:DWORD dst_unused:UNUSED_PAD src0_sel:BYTE_0
	v_cmp_ne_u32_sdwa s[6:7], v18, v6 src0_sel:BYTE_1 src1_sel:DWORD
                                        ; implicit-def: $vgpr36_vgpr37
                                        ; implicit-def: $vgpr4_vgpr5
                                        ; implicit-def: $vgpr16_vgpr17
	s_and_saveexec_b64 s[10:11], s[6:7]
	s_xor_b64 s[6:7], exec, s[10:11]
	s_cbranch_execz .LBB8_3
; %bb.2:
	flat_load_dwordx4 v[20:23], v[2:3] offset:72
	flat_load_dwordx2 v[4:5], v[2:3] offset:96
	v_add_u32_e32 v6, v6, v10
	v_ashrrev_i32_e32 v7, 31, v6
                                        ; implicit-def: $vgpr10
	s_waitcnt vmcnt(0) lgkmcnt(0)
	v_mul_lo_u32 v7, v22, v7
	v_mad_u64_u32 v[16:17], s[10:11], v22, v6, v[20:21]
	v_mul_lo_u32 v6, v23, v6
	v_lshrrev_b64 v[36:37], 21, v[4:5]
	v_add3_u32 v17, v6, v17, v7
	v_pk_mov_b32 v[4:5], v[22:23], v[22:23] op_sel:[0,1]
.LBB8_3:
	s_andn2_saveexec_b64 s[6:7], s[6:7]
	s_cbranch_execz .LBB8_5
; %bb.4:
	flat_load_dwordx4 v[20:23], v[2:3] offset:72
	flat_load_dwordx4 v[4:7], v[2:3] offset:88
	s_waitcnt vmcnt(0) lgkmcnt(0)
	v_add_u32_sdwa v6, v18, v10 dst_sel:DWORD dst_unused:UNUSED_PAD src0_sel:BYTE_1 src1_sel:DWORD
	v_ashrrev_i32_e32 v10, 31, v6
	v_mul_lo_u32 v10, v22, v10
	v_mad_u64_u32 v[16:17], s[10:11], v22, v6, v[20:21]
	v_mul_lo_u32 v6, v23, v6
	v_add3_u32 v17, v6, v17, v10
	v_lshrrev_b32_e32 v36, 10, v7
.LBB8_5:
	s_or_b64 exec, exec, s[6:7]
.LBB8_6:
	s_andn2_saveexec_b64 s[4:5], s[4:5]
	s_cbranch_execz .LBB8_8
; %bb.7:
	flat_load_dwordx2 v[4:5], v[2:3] offset:72
	flat_load_dwordx2 v[36:37], v[2:3] offset:96
	v_pk_mov_b32 v[16:17], 0, 0
.LBB8_8:
	s_or_b64 exec, exec, s[4:5]
	flat_load_dwordx4 v[10:13], v[2:3] offset:16
	s_brev_b32 s4, 34
	v_and_b32_e32 v6, 0x44000000, v18
	v_cmp_eq_u32_e64 s[20:21], s4, v6
	v_cndmask_b32_e64 v21, v1, 64, s[20:21]
	v_bfe_u32 v19, v8, 1, 30
	v_cmp_ge_i32_e32 vcc, v0, v21
	s_and_saveexec_b64 s[4:5], vcc
	s_xor_b64 s[6:7], exec, s[4:5]
	s_cbranch_execz .LBB8_40
; %bb.9:
	s_waitcnt vmcnt(0) lgkmcnt(0)
	v_cmp_ne_u64_e32 vcc, v[12:13], v[10:11]
	v_cmp_eq_u32_e64 s[4:5], v14, v19
	s_and_b64 s[10:11], vcc, s[4:5]
	s_and_saveexec_b64 s[4:5], s[10:11]
	s_cbranch_execz .LBB8_39
; %bb.10:
	v_sub_u32_e32 v23, v0, v21
	v_ashrrev_i32_e32 v0, 31, v23
	v_lshrrev_b32_e32 v0, 26, v0
	v_add_u32_e32 v0, v23, v0
	v_and_b32_e32 v2, 0xffffffc0, v0
	v_sub_u32_e32 v20, v23, v2
	v_cmp_gt_i32_e32 vcc, 1, v20
	v_mov_b32_e32 v2, 0
	s_and_saveexec_b64 s[10:11], vcc
; %bb.11:
	v_add_u32_e32 v2, v12, v16
	v_add_u32_e32 v3, v10, v16
	v_or_b32_e32 v2, v2, v3
	v_and_b32_e32 v2, 15, v2
	v_cmp_ne_u32_e32 vcc, 0, v2
	v_cndmask_b32_e64 v2, 0, 1, vcc
; %bb.12:
	s_or_b64 exec, exec, s[10:11]
	v_ashrrev_i32_e32 v24, 6, v0
	v_sub_u32_e32 v22, v1, v21
	;;#ASMSTART
	;;#ASMEND
	v_cmp_ne_u32_e32 vcc, 0, v2
	s_cbranch_vccz .LBB8_14
; %bb.13:
	s_mov_b64 s[14:15], -1
	v_pk_mov_b32 v[0:1], 0, 0
	s_and_b64 exec, exec, s[14:15]
	s_cbranch_execnz .LBB8_31
	s_branch .LBB8_39
.LBB8_14:
	v_ashrrev_i32_e32 v0, 31, v5
	v_lshrrev_b32_e32 v0, 21, v0
	v_add_co_u32_e32 v0, vcc, v4, v0
	v_addc_co_u32_e32 v1, vcc, 0, v5, vcc
	v_ashrrev_i64 v[0:1], 11, v[0:1]
	v_ashrrev_i32_e32 v2, 31, v24
	v_sub_co_u32_e32 v8, vcc, v0, v24
	v_subb_co_u32_e32 v9, vcc, v1, v2, vcc
	s_mov_b64 s[14:15], 0
	v_cmp_lt_i64_e32 vcc, 0, v[8:9]
	s_and_saveexec_b64 s[10:11], vcc
	s_cbranch_execz .LBB8_18
; %bb.15:
	v_lshlrev_b32_e32 v2, 4, v20
	v_lshl_add_u32 v6, v24, 11, v2
	v_ashrrev_i32_e32 v2, 31, v22
	v_lshrrev_b32_e32 v2, 26, v2
	v_add_u32_e32 v2, v22, v2
	v_ashrrev_i32_e32 v2, 6, v2
	v_mov_b32_e32 v3, 0xfffff800
	v_lshl_add_u32 v14, v2, 11, v3
	v_ashrrev_i32_e32 v15, 31, v14
	v_add_co_u32_e32 v14, vcc, 0x800, v14
	v_addc_co_u32_e32 v15, vcc, 0, v15, vcc
	v_ashrrev_i32_e32 v7, 31, v6
	v_add_co_u32_e32 v6, vcc, v16, v6
	v_ashrrev_i32_e32 v3, 31, v2
	v_addc_co_u32_e32 v7, vcc, v17, v7, vcc
.LBB8_16:                               ; =>This Inner Loop Header: Depth=1
	v_add_co_u32_e32 v18, vcc, v12, v6
	v_addc_co_u32_e32 v19, vcc, v13, v7, vcc
	global_load_dwordx4 v[24:27], v[18:19], off glc slc
	global_load_dwordx4 v[28:31], v[18:19], off offset:1024 glc slc
	v_add_co_u32_e32 v18, vcc, v10, v6
	v_addc_co_u32_e32 v19, vcc, v11, v7, vcc
	v_sub_co_u32_e32 v8, vcc, v8, v2
	v_subb_co_u32_e32 v9, vcc, v9, v3, vcc
	v_add_co_u32_e32 v6, vcc, v6, v14
	v_addc_co_u32_e32 v7, vcc, v7, v15, vcc
	v_cmp_gt_i64_e32 vcc, 1, v[8:9]
	s_or_b64 s[14:15], vcc, s[14:15]
	s_waitcnt vmcnt(1)
	global_store_dwordx4 v[18:19], v[24:27], off glc slc
	s_waitcnt vmcnt(1)
	global_store_dwordx4 v[18:19], v[28:31], off offset:1024 glc slc
	s_andn2_b64 exec, exec, s[14:15]
	s_cbranch_execnz .LBB8_16
; %bb.17:
	s_or_b64 exec, exec, s[14:15]
.LBB8_18:
	s_or_b64 exec, exec, s[10:11]
	v_lshlrev_b64 v[14:15], 11, v[0:1]
	v_cmp_ne_u64_e32 vcc, v[4:5], v[14:15]
	s_mov_b64 s[14:15], 0
	v_pk_mov_b32 v[0:1], 0, 0
                                        ; implicit-def: $vgpr23
                                        ; implicit-def: $vgpr24
	s_and_saveexec_b64 s[10:11], vcc
	s_cbranch_execz .LBB8_30
; %bb.19:
	v_sub_co_u32_e32 v9, vcc, v4, v14
	v_subb_co_u32_e32 v5, vcc, v5, v15, vcc
	v_ashrrev_i32_e32 v0, 31, v5
	v_lshrrev_b32_e32 v0, 22, v0
	v_add_co_u32_e32 v2, vcc, v9, v0
	v_addc_co_u32_e32 v3, vcc, 0, v5, vcc
	v_and_b32_e32 v0, 0xfffffc00, v2
	v_add_co_u32_e32 v6, vcc, v0, v14
	v_addc_co_u32_e32 v7, vcc, v3, v15, vcc
	v_ashrrev_i64 v[18:19], 10, v[2:3]
	v_sub_co_u32_e32 v2, vcc, v9, v0
	v_subb_co_u32_e32 v3, vcc, v5, v3, vcc
	v_mov_b32_e32 v1, 0
	v_cmp_lt_i64_e32 vcc, 15, v[2:3]
	s_and_saveexec_b64 s[14:15], vcc
; %bb.20:
	v_add_co_u32_e32 v18, vcc, 1, v18
	v_addc_co_u32_e32 v19, vcc, 0, v19, vcc
	v_and_b32_e32 v0, 15, v4
	v_sub_co_u32_e32 v2, vcc, v2, v0
	v_subbrev_co_u32_e32 v3, vcc, 0, v3, vcc
	v_add_co_u32_e32 v6, vcc, v2, v6
	v_addc_co_u32_e32 v7, vcc, v3, v7, vcc
	v_pk_mov_b32 v[2:3], v[0:1], v[0:1] op_sel:[0,1]
; %bb.21:
	s_or_b64 exec, exec, s[14:15]
	v_lshlrev_b32_e32 v0, 6, v8
	v_sub_u32_e32 v0, v20, v0
	v_ashrrev_i32_e32 v1, 31, v0
	v_lshrrev_b32_e32 v1, 26, v1
	v_add_u32_e32 v1, v0, v1
	v_ashrrev_i32_e32 v4, 6, v1
	v_and_b32_e32 v1, 0xffffffc0, v1
	v_sub_u32_e32 v25, v0, v1
	v_lshlrev_b32_e32 v0, 4, v25
	v_lshl_add_u32 v20, v4, 10, v0
	v_ashrrev_i32_e32 v21, 31, v20
	v_sub_co_u32_e32 v0, vcc, v9, v20
	v_subb_co_u32_e32 v1, vcc, v5, v21, vcc
	v_ashrrev_i32_e32 v5, 31, v4
	v_sub_co_u32_e32 v4, vcc, v18, v4
	v_subb_co_u32_e32 v5, vcc, v19, v5, vcc
	v_cmp_lt_i64_e32 vcc, 15, v[0:1]
	s_and_saveexec_b64 s[14:15], vcc
	s_cbranch_execz .LBB8_25
; %bb.22:
	v_ashrrev_i32_e32 v8, 31, v22
	v_lshrrev_b32_e32 v8, 26, v8
	v_add_u32_e32 v8, v22, v8
	v_ashrrev_i32_e32 v8, 6, v8
	v_lshlrev_b32_e32 v18, 10, v8
	v_add_u32_e32 v9, 0xfffffc00, v18
	v_ashrrev_i32_e32 v19, 31, v9
	v_add_co_u32_e32 v23, vcc, 0x400, v9
	v_addc_co_u32_e32 v24, vcc, 0, v19, vcc
	v_add_co_u32_e32 v14, vcc, v16, v14
	v_addc_co_u32_e32 v15, vcc, v17, v15, vcc
	v_add_co_u32_e32 v14, vcc, v14, v20
	v_ashrrev_i32_e32 v9, 31, v18
	v_ashrrev_i32_e32 v19, 31, v8
	v_addc_co_u32_e32 v15, vcc, v15, v21, vcc
	s_mov_b64 s[16:17], 0
.LBB8_23:                               ; =>This Inner Loop Header: Depth=1
	v_add_co_u32_e32 v20, vcc, v12, v14
	v_addc_co_u32_e32 v21, vcc, v13, v15, vcc
	global_load_dwordx4 v[26:29], v[20:21], off glc slc
	v_add_co_u32_e32 v20, vcc, v10, v14
	v_addc_co_u32_e32 v21, vcc, v11, v15, vcc
	v_sub_co_u32_e32 v0, vcc, v0, v18
	v_subb_co_u32_e32 v1, vcc, v1, v9, vcc
	v_sub_co_u32_e32 v4, vcc, v4, v8
	v_subb_co_u32_e32 v5, vcc, v5, v19, vcc
	v_add_co_u32_e32 v14, vcc, v14, v23
	v_addc_co_u32_e32 v15, vcc, v15, v24, vcc
	v_cmp_gt_i64_e32 vcc, 16, v[0:1]
	s_or_b64 s[16:17], vcc, s[16:17]
	s_waitcnt vmcnt(0)
	global_store_dwordx4 v[20:21], v[26:29], off glc slc
	s_andn2_b64 exec, exec, s[16:17]
	s_cbranch_execnz .LBB8_23
; %bb.24:
	s_or_b64 exec, exec, s[16:17]
.LBB8_25:
	s_or_b64 exec, exec, s[14:15]
	s_mov_b64 s[14:15], 0
	v_cmp_lt_i64_e32 vcc, 0, v[4:5]
	s_and_saveexec_b64 s[16:17], vcc
; %bb.26:
	v_ashrrev_i32_e32 v0, 31, v22
	v_lshrrev_b32_e32 v0, 26, v0
	v_add_u32_e32 v0, v22, v0
	v_ashrrev_i32_e32 v0, 6, v0
	v_sub_co_u32_e32 v4, vcc, v4, v0
; %bb.27:
	s_or_b64 exec, exec, s[16:17]
	v_cmp_ne_u64_e32 vcc, 0, v[2:3]
	v_pk_mov_b32 v[0:1], 0, 0
                                        ; implicit-def: $vgpr23
                                        ; implicit-def: $vgpr24
	s_and_saveexec_b64 s[16:17], vcc
; %bb.28:
	v_lshlrev_b32_e32 v0, 6, v4
	v_sub_u32_e32 v23, v25, v0
	v_ashrrev_i32_e32 v0, 31, v23
	v_lshrrev_b32_e32 v0, 26, v0
	v_add_u32_e32 v0, v23, v0
	s_mov_b64 s[14:15], exec
	v_ashrrev_i32_e32 v24, 6, v0
	v_pk_mov_b32 v[0:1], v[6:7], v[6:7] op_sel:[0,1]
; %bb.29:
	s_or_b64 exec, exec, s[16:17]
	s_and_b64 s[14:15], s[14:15], exec
	v_pk_mov_b32 v[4:5], v[2:3], v[2:3] op_sel:[0,1]
.LBB8_30:
	s_or_b64 exec, exec, s[10:11]
	s_and_b64 exec, exec, s[14:15]
	s_cbranch_execz .LBB8_39
.LBB8_31:
	v_ashrrev_i32_e32 v2, 31, v5
	v_lshrrev_b32_e32 v2, 22, v2
	v_add_co_u32_e32 v2, vcc, v4, v2
	v_addc_co_u32_e32 v3, vcc, 0, v5, vcc
	v_ashrrev_i64 v[6:7], 10, v[2:3]
	v_ashrrev_i32_e32 v3, 31, v24
	v_sub_co_u32_e32 v2, vcc, v6, v24
	v_subb_co_u32_e32 v3, vcc, v7, v3, vcc
	s_mov_b64 s[14:15], 0
	v_cmp_lt_i64_e32 vcc, 0, v[2:3]
	s_and_saveexec_b64 s[10:11], vcc
	s_cbranch_execz .LBB8_35
; %bb.32:
	v_ashrrev_i32_e32 v14, 31, v22
	v_lshrrev_b32_e32 v14, 26, v14
	v_add_u32_e32 v14, v22, v14
	v_ashrrev_i32_e32 v14, 6, v14
	v_mov_b32_e32 v15, 0xfffffc00
	v_lshl_add_u32 v18, v14, 10, v15
	s_movk_i32 s13, 0x400
	v_ashrrev_i32_e32 v19, 31, v18
	v_add_co_u32_e32 v25, vcc, s13, v18
	v_ashrrev_i32_e32 v8, 31, v23
	v_addc_co_u32_e32 v26, vcc, 0, v19, vcc
	v_lshrrev_b32_e32 v8, 26, v8
	v_add_co_u32_e32 v20, vcc, v16, v0
	v_add_u32_e32 v8, v23, v8
	v_addc_co_u32_e32 v21, vcc, v17, v1, vcc
	v_and_b32_e32 v8, 0xffffffc0, v8
	v_add_co_u32_e32 v18, vcc, v20, v12
	v_sub_u32_e32 v8, v23, v8
	v_addc_co_u32_e32 v19, vcc, v21, v13, vcc
	v_lshl_add_u32 v8, v24, 10, v8
	v_add_co_u32_e32 v20, vcc, v20, v10
	v_ashrrev_i32_e32 v9, 31, v8
	v_ashrrev_i32_e32 v15, 31, v14
	v_addc_co_u32_e32 v21, vcc, v21, v11, vcc
.LBB8_33:                               ; =>This Inner Loop Header: Depth=1
	v_add_co_u32_e32 v28, vcc, v8, v18
	v_addc_co_u32_e32 v29, vcc, v9, v19, vcc
	flat_load_ubyte v27, v[28:29] glc slc
	flat_load_ubyte v30, v[28:29] offset:64 glc slc
	flat_load_ubyte v31, v[28:29] offset:128 glc slc
	;; [unrolled: 1-line block ×15, first 2 shown]
	v_add_co_u32_e32 v28, vcc, v8, v20
	v_addc_co_u32_e32 v29, vcc, v9, v21, vcc
	v_sub_co_u32_e32 v2, vcc, v2, v14
	v_subb_co_u32_e32 v3, vcc, v3, v15, vcc
	v_add_co_u32_e32 v18, vcc, v18, v25
	v_addc_co_u32_e32 v19, vcc, v19, v26, vcc
	v_add_co_u32_e32 v20, vcc, v20, v25
	v_addc_co_u32_e32 v21, vcc, v21, v26, vcc
	v_cmp_gt_i64_e32 vcc, 1, v[2:3]
	s_or_b64 s[14:15], vcc, s[14:15]
	s_waitcnt vmcnt(0) lgkmcnt(0)
	flat_store_byte v[28:29], v27 glc slc
	flat_store_byte v[28:29], v30 offset:64 glc slc
	flat_store_byte v[28:29], v31 offset:128 glc slc
	;; [unrolled: 1-line block ×15, first 2 shown]
	s_andn2_b64 exec, exec, s[14:15]
	s_cbranch_execnz .LBB8_33
; %bb.34:
	s_or_b64 exec, exec, s[14:15]
.LBB8_35:
	s_or_b64 exec, exec, s[10:11]
	v_lshlrev_b64 v[6:7], 10, v[6:7]
	v_cmp_ne_u64_e32 vcc, v[4:5], v[6:7]
	s_and_b64 exec, exec, vcc
	s_cbranch_execz .LBB8_39
; %bb.36:
	v_lshlrev_b32_e32 v3, 6, v24
	v_sub_u32_e32 v3, v23, v3
	v_lshlrev_b32_e32 v2, 6, v2
	v_sub_u32_e32 v8, v3, v2
	v_ashrrev_i32_e32 v9, 31, v8
	v_add_co_u32_e32 v2, vcc, v6, v8
	v_addc_co_u32_e32 v3, vcc, v7, v9, vcc
	v_sub_co_u32_e32 v2, vcc, v4, v2
	v_subb_co_u32_e32 v3, vcc, v5, v3, vcc
	s_mov_b64 s[10:11], 0
	v_cmp_lt_i64_e32 vcc, 0, v[2:3]
	s_and_b64 exec, exec, vcc
	s_cbranch_execz .LBB8_39
; %bb.37:
	v_ashrrev_i32_e32 v4, 31, v22
	v_lshrrev_b32_e32 v4, 26, v4
	v_add_u32_e32 v4, v22, v4
	v_and_b32_e32 v4, 0xffffffc0, v4
	v_subrev_u32_e32 v5, 64, v4
	v_ashrrev_i32_e32 v15, 31, v5
	v_add_co_u32_e32 v14, vcc, 64, v5
	v_addc_co_u32_e32 v15, vcc, 0, v15, vcc
	v_add_co_u32_e32 v0, vcc, v16, v0
	v_addc_co_u32_e32 v1, vcc, v17, v1, vcc
	;; [unrolled: 2-line block ×3, first 2 shown]
	v_add_co_u32_e32 v0, vcc, v0, v8
	v_ashrrev_i32_e32 v5, 31, v4
	v_addc_co_u32_e32 v1, vcc, v1, v9, vcc
.LBB8_38:                               ; =>This Inner Loop Header: Depth=1
	v_add_co_u32_e32 v6, vcc, v12, v0
	v_addc_co_u32_e32 v7, vcc, v13, v1, vcc
	flat_load_ubyte v8, v[6:7] glc slc
	v_add_co_u32_e32 v6, vcc, v10, v0
	v_addc_co_u32_e32 v7, vcc, v11, v1, vcc
	v_sub_co_u32_e32 v2, vcc, v2, v4
	v_subb_co_u32_e32 v3, vcc, v3, v5, vcc
	v_add_co_u32_e32 v0, vcc, v0, v14
	v_addc_co_u32_e32 v1, vcc, v1, v15, vcc
	v_cmp_gt_i64_e32 vcc, 1, v[2:3]
	s_or_b64 s[10:11], vcc, s[10:11]
	s_waitcnt vmcnt(0) lgkmcnt(0)
	flat_store_byte v[6:7], v8 glc slc
	s_andn2_b64 exec, exec, s[10:11]
	s_cbranch_execnz .LBB8_38
.LBB8_39:
	s_or_b64 exec, exec, s[4:5]
                                        ; implicit-def: $vgpr14_vgpr15
                                        ; implicit-def: $vgpr16_vgpr17
                                        ; implicit-def: $vgpr4_vgpr5
                                        ; implicit-def: $vgpr36_vgpr37
                                        ; implicit-def: $vgpr19
                                        ; implicit-def: $vgpr10_vgpr11
                                        ; implicit-def: $vgpr21
                                        ; implicit-def: $vgpr0
                                        ; implicit-def: $vgpr31
                                        ; implicit-def: $vgpr8_vgpr9
                                        ; implicit-def: $vgpr2_vgpr3
.LBB8_40:
	s_andn2_saveexec_b64 s[44:45], s[6:7]
	s_cbranch_execz .LBB8_1037
; %bb.41:
	s_trap 2
	ds_read_b64 v[6:7], v0
	s_waitcnt lgkmcnt(0)
	v_cmp_ne_u32_e32 vcc, -1, v6
	v_cndmask_b32_e64 v1, 0, 1, vcc
	v_cmp_ne_u32_e32 vcc, -1, v7
	v_addc_co_u32_e64 v6, s[4:5], 0, v1, vcc
	v_lshlrev_b32_e32 v7, 1, v6
	v_cmp_le_i32_e64 s[4:5], v7, v21
	s_and_saveexec_b64 s[6:7], s[4:5]
	s_xor_b64 s[46:47], exec, s[6:7]
	s_cbranch_execz .LBB8_1034
; %bb.42:
	flat_load_dwordx2 v[28:29], v[2:3] offset:104
	s_trap 2
	s_load_dword s4, s[8:9], 0x0
	v_mov_b32_e32 v7, 0
	v_mov_b32_e32 v46, 4
	s_waitcnt lgkmcnt(0)
	s_cmp_lt_u32 s12, s4
	s_cselect_b32 s4, 12, 18
	s_add_u32 s4, s8, s4
	s_addc_u32 s5, s9, 0
	global_load_ushort v30, v7, s[4:5]
	ds_read_b32 v7, v0
	v_cmp_ge_i32_e64 s[4:5], v0, v1
	s_waitcnt lgkmcnt(0)
	v_readfirstlane_b32 s22, v7
	s_and_saveexec_b64 s[6:7], s[4:5]
	s_cbranch_execz .LBB8_52
; %bb.43:
	v_cmp_le_u32_e64 s[4:5], v6, v0
                                        ; implicit-def: $vgpr46
	s_and_saveexec_b64 s[10:11], s[4:5]
	s_xor_b64 s[4:5], exec, s[10:11]
	s_cbranch_execz .LBB8_49
; %bb.44:
	v_cndmask_b32_e64 v7, 0, 1, vcc
	v_sub_u32_e32 v7, v21, v7
	v_cmp_ge_u32_e32 vcc, v0, v7
                                        ; implicit-def: $sgpr12
	s_and_saveexec_b64 s[10:11], vcc
	s_xor_b64 s[10:11], exec, s[10:11]
; %bb.45:
	s_mov_b32 s12, 16
                                        ; implicit-def: $vgpr6
; %bb.46:
	s_or_saveexec_b64 s[10:11], s[10:11]
	v_mov_b32_e32 v46, s12
	s_xor_b64 exec, exec, s[10:11]
; %bb.47:
	v_sub_u32_e32 v6, v21, v6
	v_cmp_ge_i32_e32 vcc, v0, v6
	v_cndmask_b32_e64 v6, 0, 1, vcc
	v_lshlrev_b32_e32 v46, 5, v6
; %bb.48:
	s_or_b64 exec, exec, s[10:11]
.LBB8_49:
	s_andn2_saveexec_b64 s[4:5], s[4:5]
; %bb.50:
	v_mov_b32_e32 v46, 8
; %bb.51:
	s_or_b64 exec, exec, s[4:5]
.LBB8_52:
	s_or_b64 exec, exec, s[6:7]
	v_and_b32_e32 v6, 36, v46
	v_cmp_ne_u32_e32 vcc, 0, v6
	v_mov_b32_e32 v38, -1
	s_and_saveexec_b64 s[4:5], vcc
	s_cbranch_execz .LBB8_54
; %bb.53:
	s_trap 2
	ds_read_b32 v38, v0
.LBB8_54:
	s_or_b64 exec, exec, s[4:5]
	v_and_b32_e32 v6, 24, v46
	v_cmp_ne_u32_e64 s[4:5], 0, v6
	s_and_saveexec_b64 s[6:7], s[4:5]
	s_cbranch_execz .LBB8_56
; %bb.55:
	s_trap 2
	s_waitcnt lgkmcnt(0)
	ds_read_b32 v38, v0
.LBB8_56:
	s_or_b64 exec, exec, s[6:7]
	v_lshrrev_b64 v[6:7], 31, v[8:9]
	v_pk_mov_b32 v[48:49], 0, 0
	v_and_b32_e32 v18, 3, v6
	s_waitcnt lgkmcnt(0)
	v_ashrrev_i32_e32 v39, 31, v38
	v_pk_mov_b32 v[6:7], v[48:49], v[48:49] op_sel:[0,1]
                                        ; implicit-def: $agpr2_agpr3
                                        ; implicit-def: $vgpr52
                                        ; implicit-def: $vgpr32_vgpr33
                                        ; implicit-def: $vgpr34_vgpr35
                                        ; implicit-def: $vgpr22_vgpr23
	s_and_saveexec_b64 s[4:5], vcc
	s_cbranch_execz .LBB8_66
; %bb.57:
	s_trap 2
	ds_read_b64 v[6:7], v0
	v_lshlrev_b64 v[8:9], 3, v[38:39]
	s_movk_i32 s6, 0xa8
                                        ; implicit-def: $agpr2_agpr3
	s_waitcnt lgkmcnt(0)
	v_add_co_u32_e32 v6, vcc, v6, v8
	v_addc_co_u32_e32 v7, vcc, v7, v9, vcc
	flat_load_dwordx2 v[6:7], v[6:7]
	v_and_b32_e32 v8, 0xffff, v18
	s_waitcnt vmcnt(0) lgkmcnt(0)
	v_mad_u64_u32 v[6:7], s[6:7], v8, s6, v[6:7]
	flat_load_dword v8, v[6:7] offset:640
	v_add_co_u32_e32 v48, vcc, 0x1f8, v6
	v_addc_co_u32_e32 v49, vcc, 0, v7, vcc
	s_waitcnt vmcnt(0) lgkmcnt(0)
	v_cmp_eq_u32_e32 vcc, 1, v8
	s_and_saveexec_b64 s[6:7], vcc
	s_cbranch_execz .LBB8_59
; %bb.58:
	flat_load_dwordx2 v[8:9], v[48:49] offset:144
	v_or_b32_e32 v46, 0x2000, v46
	s_waitcnt vmcnt(0) lgkmcnt(0)
	flat_load_dwordx2 v[6:7], v[8:9]
	s_trap 2
	v_accvgpr_write_b32 a2, v8
	v_accvgpr_write_b32 a3, v9
	s_waitcnt vmcnt(0) lgkmcnt(0)
	ds_write_b64 v0, v[6:7]
	flat_load_dwordx2 v[6:7], v[8:9] offset:8
	s_waitcnt vmcnt(0) lgkmcnt(0)
	ds_write_b64 v0, v[6:7]
	flat_load_dwordx2 v[6:7], v[8:9] offset:16
	s_waitcnt vmcnt(0) lgkmcnt(0)
	ds_write_b64 v0, v[6:7]
.LBB8_59:
	s_or_b64 exec, exec, s[6:7]
	flat_load_dwordx2 v[8:9], v[48:49] offset:104
	v_and_b32_e32 v6, 32, v46
	v_cmp_ne_u32_e32 vcc, 0, v6
                                        ; implicit-def: $vgpr22_vgpr23
	s_and_saveexec_b64 s[6:7], vcc
	s_cbranch_execz .LBB8_61
; %bb.60:
	flat_load_dwordx2 v[22:23], v[48:49] offset:56
	s_waitcnt vmcnt(0) lgkmcnt(0)
	flat_store_dwordx2 v[22:23], v[8:9]
.LBB8_61:
	s_or_b64 exec, exec, s[6:7]
	v_and_b32_e32 v6, 4, v46
	v_cmp_ne_u32_e32 vcc, 0, v6
	v_pk_mov_b32 v[6:7], 0, 0
                                        ; implicit-def: $vgpr52
                                        ; implicit-def: $vgpr32_vgpr33
                                        ; implicit-def: $vgpr34_vgpr35
	s_and_saveexec_b64 s[6:7], vcc
	s_cbranch_execz .LBB8_65
; %bb.62:
	v_and_b32_e32 v6, 0x800, v46
	v_cmp_eq_u32_e32 vcc, 0, v6
	s_and_saveexec_b64 s[10:11], vcc
	s_cbranch_execz .LBB8_64
; %bb.63:
	s_trap 2
	ds_write_b64 v0, v[48:49]
.LBB8_64:
	s_or_b64 exec, exec, s[10:11]
	flat_load_dwordx2 v[22:23], v[48:49] offset:48
	v_or_b32_e32 v20, 0x100, v46
	s_waitcnt vmcnt(0) lgkmcnt(0)
	flat_load_dwordx2 v[34:35], v[22:23] glc
	flat_load_dwordx2 v[6:7], v[48:49] offset:96
	flat_load_dword v52, v[48:49] offset:72
	flat_load_dwordx2 v[32:33], v[48:49] offset:16
	s_waitcnt vmcnt(0) lgkmcnt(0)
	v_cmp_eq_u64_e32 vcc, 0, v[6:7]
	v_cndmask_b32_e32 v46, v20, v46, vcc
.LBB8_65:
	s_or_b64 exec, exec, s[6:7]
.LBB8_66:
	s_or_b64 exec, exec, s[4:5]
	v_and_b32_e32 v20, 24, v46
	v_cmp_ne_u32_e32 vcc, 0, v20
                                        ; implicit-def: $vgpr44_vgpr45
	s_and_saveexec_b64 s[4:5], vcc
	s_cbranch_execz .LBB8_74
; %bb.67:
	s_trap 2
	ds_read_b64 v[6:7], v0
	s_waitcnt vmcnt(0) lgkmcnt(0)
	v_lshlrev_b64 v[8:9], 3, v[38:39]
	s_movk_i32 s6, 0xa8
                                        ; implicit-def: $vgpr44_vgpr45
	v_add_co_u32_e32 v6, vcc, v6, v8
	v_addc_co_u32_e32 v7, vcc, v7, v9, vcc
	flat_load_dwordx2 v[6:7], v[6:7]
	v_and_b32_e32 v8, 0xffff, v18
	v_or_b32_e32 v18, 0x100, v46
	s_waitcnt vmcnt(0) lgkmcnt(0)
	v_mad_u64_u32 v[48:49], s[6:7], v8, s6, v[6:7]
	flat_load_dwordx4 v[6:9], v[48:49] offset:96
	s_waitcnt vmcnt(0) lgkmcnt(0)
	v_cmp_eq_u64_e32 vcc, 0, v[6:7]
	v_cndmask_b32_e32 v46, v18, v46, vcc
	v_and_b32_e32 v18, 16, v46
	v_cmp_ne_u32_e32 vcc, 0, v18
	s_and_saveexec_b64 s[6:7], vcc
	s_cbranch_execz .LBB8_69
; %bb.68:
	flat_load_dwordx2 v[44:45], v[48:49] offset:120
	flat_load_dwordx2 v[22:23], v[48:49] offset:48
	;; [unrolled: 1-line block ×3, first 2 shown]
.LBB8_69:
	s_or_b64 exec, exec, s[6:7]
	v_and_b32_e32 v18, 8, v46
	v_cmp_ne_u32_e32 vcc, 0, v18
	s_and_saveexec_b64 s[6:7], vcc
	s_cbranch_execz .LBB8_73
; %bb.70:
	v_and_b32_e32 v18, 0x800, v46
	v_cmp_eq_u32_e32 vcc, 0, v18
	s_and_saveexec_b64 s[10:11], vcc
	s_cbranch_execz .LBB8_72
; %bb.71:
	s_trap 2
	ds_write_b64 v0, v[48:49]
.LBB8_72:
	s_or_b64 exec, exec, s[10:11]
	s_waitcnt vmcnt(0) lgkmcnt(0)
	flat_load_dwordx2 v[22:23], v[48:49] offset:56
	s_waitcnt vmcnt(0) lgkmcnt(0)
	flat_load_dwordx2 v[34:35], v[22:23] glc
	flat_load_dword v52, v[48:49] offset:72
	flat_load_dwordx2 v[32:33], v[48:49] offset:16
.LBB8_73:
	s_or_b64 exec, exec, s[6:7]
.LBB8_74:
	s_or_b64 exec, exec, s[4:5]
	v_cmp_eq_u32_e64 s[4:5], 0, v0
	s_and_saveexec_b64 s[6:7], s[4:5]
	s_cbranch_execz .LBB8_76
; %bb.75:
	flat_load_dwordx2 v[24:25], v[2:3] offset:32
	s_waitcnt vmcnt(0)
	v_mov_b32_e32 v26, v12
	v_mov_b32_e32 v27, v13
	;; [unrolled: 1-line block ×4, first 2 shown]
	ds_write2_b64 v0, v[26:27], v[38:39] offset1:1
	s_trap 2
	s_waitcnt lgkmcnt(0)
	ds_write_b64 v0, v[24:25]
	ds_write_b64 v0, v[28:29]
.LBB8_76:
	s_or_b64 exec, exec, s[6:7]
	s_mov_b64 s[50:51], 0
	s_waitcnt vmcnt(0)
	v_cmp_ne_u64_e32 vcc, 0, v[4:5]
	v_pk_mov_b32 v[28:29], 0, 0
	s_and_saveexec_b64 s[48:49], vcc
	s_cbranch_execz .LBB8_998
; %bb.77:
	flat_load_dword v24, v[2:3] offset:4
	v_cmp_ne_u32_e64 s[6:7], v14, v19
	v_cmp_ne_u32_e64 s[10:11], v15, v19
	s_waitcnt lgkmcnt(0)
	v_ashrrev_i32_e32 v15, 31, v52
	v_accvgpr_write_b32 a1, v30
	v_cmp_ne_u32_sdwa s[52:53], v21, v30 src0_sel:DWORD src1_sel:WORD_0
	v_and_b32_e32 v14, 63, v31
	v_lshrrev_b32_e32 v30, 6, v21
	v_mov_b32_e32 v19, 0xfffff800
	v_lshlrev_b32_e32 v18, 9, v36
	v_accvgpr_write_b32 a7, v15
	v_ashrrev_i32_e32 v15, 31, v0
	s_movk_i32 s26, 0x800
	v_cmp_ne_u64_e32 vcc, v[12:13], v[10:11]
	s_xor_b64 s[24:25], s[20:21], -1
	v_cmp_eq_u32_e64 s[20:21], 0, v14
	v_lshl_add_u32 v14, v30, 11, v19
	v_cvt_f64_u32_e32 v[2:3], 0
	v_and_b32_e32 v47, 0xffffffc0, v21
	v_and_b32_e32 v20, 0x3ffffe00, v18
	v_lshrrev_b32_e32 v10, 26, v15
	s_and_b64 s[54:55], s[24:25], vcc
	v_ashrrev_i32_e32 v15, 31, v14
	v_add_co_u32_e32 v59, vcc, s26, v14
	v_ldexp_f64 v[2:3], v[2:3], 32
	v_subrev_u32_e32 v56, 64, v47
	v_cvt_f64_u32_e32 v[12:13], v20
	v_add_u32_e32 v10, v0, v10
	v_addc_co_u32_e32 v60, vcc, 0, v15, vcc
	v_accvgpr_write_b32 a4, v48
	s_ashr_i32 s23, s22, 31
	v_accvgpr_write_b32 a0, v31
	v_lshlrev_b32_e32 v31, 10, v30
	v_ashrrev_i32_e32 v51, 31, v56
	v_add_f64 v[54:55], v[2:3], v[12:13]
	v_ashrrev_i32_e32 v57, 6, v10
	v_and_b32_e32 v2, 0xffffffc0, v10
	v_add_co_u32_e32 v61, vcc, 64, v56
	v_accvgpr_write_b32 a5, v49
	s_movk_i32 s27, 0x400
	s_lshr_b32 s23, s23, 24
	v_add_u32_e32 v48, 0xfffffc00, v31
	v_addc_co_u32_e32 v62, vcc, 0, v51, vcc
	v_sub_u32_e32 v10, v0, v2
	v_lshlrev_b32_e32 v2, 11, v57
	s_add_i32 s22, s22, s23
	v_ashrrev_i32_e32 v3, 31, v48
	v_add_co_u32_e32 v18, vcc, s27, v48
	v_lshl_add_u32 v2, v10, 4, v2
	s_ashr_i32 s83, s22, 8
	v_accvgpr_write_b32 a19, v3
	v_addc_co_u32_e32 v19, vcc, 0, v3, vcc
	v_cmp_lt_i32_e64 s[22:23], v10, v1
	v_cmp_le_i32_e64 s[24:25], v10, v1
	v_ashrrev_i32_e32 v3, 31, v2
	v_pk_mov_b32 v[38:39], 0, 0
	v_accvgpr_write_b32 a21, v3
	v_accvgpr_write_b32 a8, v44
	v_accvgpr_write_b32 a16, v54
	v_mov_b32_e32 v36, 0
	v_cmp_eq_u32_e64 s[12:13], 64, v21
	v_cmp_ne_u32_e64 s[14:15], 64, v21
	s_movk_i32 s80, 0xffc0
	v_cmp_eq_u64_e64 s[16:17], 0, v[44:45]
	v_cmp_ne_u64_e64 s[18:19], 0, v[44:45]
	s_movk_i32 s81, 0x270e
	s_movk_i32 s82, 0x108
	v_mov_b32_e32 v58, 1
	v_accvgpr_write_b32 a18, v10
	v_cmp_gt_i32_e64 s[26:27], 1, v10
	v_accvgpr_write_b32 a20, v2
	v_pk_mov_b32 v[28:29], v[38:39], v[38:39] op_sel:[0,1]
	v_accvgpr_write_b32 a6, v52
	v_accvgpr_write_b32 a9, v45
	s_waitcnt vmcnt(0)
	v_and_b32_e32 v1, 1, v24
	v_cmp_eq_u32_e64 s[28:29], 1, v1
	s_xor_b64 s[56:57], s[28:29], -1
	v_accvgpr_write_b32 a11, v31
	v_accvgpr_write_b32 a12, v56
	;; [unrolled: 1-line block ×6, first 2 shown]
	s_trap 2
	s_branch .LBB8_79
.LBB8_78:                               ;   in Loop: Header=BB8_79 Depth=1
	s_or_b64 exec, exec, s[30:31]
	v_add_co_u32_e32 v38, vcc, v38, v20
	v_addc_co_u32_e32 v39, vcc, 0, v39, vcc
	v_cmp_ge_u64_e32 vcc, v[38:39], v[4:5]
	s_or_b64 s[50:51], vcc, s[50:51]
	s_andn2_b64 exec, exec, s[50:51]
	s_cbranch_execz .LBB8_997
.LBB8_79:                               ; =>This Loop Header: Depth=1
                                        ;     Child Loop BB8_98 Depth 2
                                        ;     Child Loop BB8_133 Depth 2
	;; [unrolled: 1-line block ×9, first 2 shown]
                                        ;       Child Loop BB8_221 Depth 3
                                        ;     Child Loop BB8_231 Depth 2
                                        ;     Child Loop BB8_236 Depth 2
                                        ;       Child Loop BB8_237 Depth 3
                                        ;     Child Loop BB8_282 Depth 2
                                        ;     Child Loop BB8_389 Depth 2
	;; [unrolled: 1-line block ×26, first 2 shown]
                                        ;       Child Loop BB8_308 Depth 3
                                        ;     Child Loop BB8_318 Depth 2
                                        ;     Child Loop BB8_323 Depth 2
                                        ;       Child Loop BB8_324 Depth 3
                                        ;     Child Loop BB8_370 Depth 2
                                        ;     Child Loop BB8_408 Depth 2
	;; [unrolled: 1-line block ×17, first 2 shown]
	v_add_co_u32_e32 v2, vcc, v38, v16
	v_addc_co_u32_e32 v3, vcc, v39, v17, vcc
	v_sub_co_u32_e32 v1, vcc, v4, v38
	v_subb_co_u32_e32 v10, vcc, v5, v39, vcc
	v_cvt_f64_u32_e32 v[12:13], v10
	v_ldexp_f64 v[12:13], v[12:13], 32
	v_cvt_f64_u32_e32 v[14:15], v1
	v_add_f64 v[12:13], v[12:13], v[14:15]
	v_max_f64 v[14:15], v[54:55], v[54:55]
	v_min_f64 v[12:13], v[14:15], v[12:13]
	v_cvt_i32_f64_e32 v1, v[12:13]
	v_max_i32_e32 v53, 0, v1
	v_add_u32_e32 v10, 15, v53
	v_ashrrev_i32_e32 v12, 31, v10
	v_lshrrev_b32_e32 v12, 28, v12
	v_add_u32_e32 v10, v10, v12
	v_and_b32_e32 v10, -16, v10
	v_max_i32_e32 v42, s83, v10
	v_cmp_gt_i32_e64 s[30:31], 1, v1
	v_cmp_lt_i32_e64 s[34:35], 0, v1
	s_mov_b64 s[58:59], 0
	s_and_saveexec_b64 vcc, s[6:7]
	s_xor_b64 s[60:61], exec, vcc
	s_cbranch_execz .LBB8_87
; %bb.80:                               ;   in Loop: Header=BB8_79 Depth=1
	s_mov_b64 s[38:39], 0
	s_and_saveexec_b64 vcc, s[10:11]
	s_xor_b64 s[58:59], exec, vcc
	s_cbranch_execz .LBB8_566
; %bb.81:                               ;   in Loop: Header=BB8_79 Depth=1
	v_mov_b32_e32 v1, 0
	s_and_saveexec_b64 s[62:63], s[34:35]
	s_cbranch_execz .LBB8_424
; %bb.82:                               ;   in Loop: Header=BB8_79 Depth=1
	s_and_saveexec_b64 s[36:37], s[4:5]
	s_cbranch_execz .LBB8_84
; %bb.83:                               ;   in Loop: Header=BB8_79 Depth=1
	s_trap 2
	ds_read_b128 v[12:15], v0
	s_waitcnt lgkmcnt(0)
	v_add_co_u32_e32 v12, vcc, v12, v2
	v_addc_co_u32_e32 v13, vcc, v13, v3, vcc
	v_add_co_u32_e32 v1, vcc, v14, v2
	v_addc_co_u32_e32 v2, vcc, v15, v3, vcc
	v_cmp_ne_u64_e32 vcc, 0, v[14:15]
	v_cndmask_b32_e32 v3, 0, v2, vcc
	v_cndmask_b32_e32 v2, 0, v1, vcc
	ds_write_b64 v0, v[12:13]
	ds_write_b64 v0, v[2:3]
.LBB8_84:                               ;   in Loop: Header=BB8_79 Depth=1
	s_or_b64 exec, exec, s[36:37]
	v_and_b32_e32 v1, 12, v46
	v_cmp_ne_u32_e32 vcc, 0, v1
	s_mov_b64 s[38:39], -1
	s_and_saveexec_b64 s[36:37], vcc
	s_cbranch_execz .LBB8_111
; %bb.85:                               ;   in Loop: Header=BB8_79 Depth=1
	v_and_b32_e32 v2, 8, v46
	v_add_co_u32_e32 v14, vcc, v34, v2
	v_addc_co_u32_e32 v15, vcc, 0, v35, vcc
	v_add_co_u32_e32 v12, vcc, 1, v8
	v_addc_co_u32_e32 v13, vcc, 0, v9, vcc
	v_cmp_lt_u64_e32 vcc, v[14:15], v[12:13]
	v_mov_b32_e32 v1, 1
	s_and_saveexec_b64 s[38:39], vcc
	s_cbranch_execz .LBB8_110
; %bb.86:                               ;   in Loop: Header=BB8_79 Depth=1
	s_mov_b64 s[40:41], 0
	v_mov_b32_e32 v1, 0
                                        ; implicit-def: $sgpr42_sgpr43
	s_branch .LBB8_98
.LBB8_87:                               ;   in Loop: Header=BB8_79 Depth=1
	s_andn2_saveexec_b64 s[60:61], s[60:61]
	s_cbranch_execz .LBB8_995
.LBB8_88:                               ;   in Loop: Header=BB8_79 Depth=1
	s_mov_b64 s[38:39], 0
	s_mov_b64 s[36:37], s[58:59]
	s_and_saveexec_b64 vcc, s[54:55]
	s_xor_b64 s[62:63], exec, vcc
	s_cbranch_execz .LBB8_615
; %bb.89:                               ;   in Loop: Header=BB8_79 Depth=1
	v_mov_b32_e32 v1, 0
	s_and_saveexec_b64 s[64:65], s[34:35]
	s_cbranch_execz .LBB8_478
; %bb.90:                               ;   in Loop: Header=BB8_79 Depth=1
	s_and_saveexec_b64 s[36:37], s[4:5]
	s_cbranch_execz .LBB8_92
; %bb.91:                               ;   in Loop: Header=BB8_79 Depth=1
	s_trap 2
	ds_read2_b64 v[12:15], v0 offset1:1
	ds_read_b64 v[24:25], v0
	s_waitcnt lgkmcnt(0)
	v_add_co_u32_e32 v12, vcc, v12, v2
	v_addc_co_u32_e32 v13, vcc, v13, v3, vcc
	ds_write_b64 v0, v[12:13]
	v_add_co_u32_e32 v12, vcc, v14, v2
	v_addc_co_u32_e32 v13, vcc, v15, v3, vcc
	v_add_co_u32_e32 v1, vcc, v24, v2
	v_addc_co_u32_e32 v2, vcc, v25, v3, vcc
	v_cmp_ne_u64_e32 vcc, 0, v[24:25]
	v_cndmask_b32_e32 v3, 0, v2, vcc
	v_cndmask_b32_e32 v2, 0, v1, vcc
	ds_write_b64 v0, v[12:13]
	ds_write_b64 v0, v[2:3]
.LBB8_92:                               ;   in Loop: Header=BB8_79 Depth=1
	s_or_b64 exec, exec, s[36:37]
	v_and_b32_e32 v1, 8, v46
	v_cmp_ne_u32_e32 vcc, 0, v1
	s_mov_b64 s[38:39], -1
	s_and_saveexec_b64 s[36:37], vcc
	s_cbranch_execz .LBB8_139
; %bb.93:                               ;   in Loop: Header=BB8_79 Depth=1
	v_add_co_u32_e32 v12, vcc, 8, v34
	v_addc_co_u32_e32 v13, vcc, 0, v35, vcc
	v_add_co_u32_e32 v2, vcc, 1, v8
	v_addc_co_u32_e32 v3, vcc, 0, v9, vcc
	v_cmp_lt_u64_e32 vcc, v[12:13], v[2:3]
	v_mov_b32_e32 v1, 1
	s_and_saveexec_b64 s[38:39], vcc
	s_cbranch_execz .LBB8_138
; %bb.94:                               ;   in Loop: Header=BB8_79 Depth=1
	s_mov_b64 s[40:41], 0
	v_mov_b32_e32 v1, 0
                                        ; implicit-def: $sgpr42_sgpr43
	s_branch .LBB8_105
.LBB8_95:                               ;   in Loop: Header=BB8_98 Depth=2
	s_or_b64 exec, exec, s[70:71]
	v_mov_b32_e32 v3, 0
	s_orn2_b64 s[68:69], s[68:69], exec
.LBB8_96:                               ;   in Loop: Header=BB8_98 Depth=2
	s_or_b64 exec, exec, s[66:67]
	s_andn2_b64 vcc, s[42:43], exec
	s_and_b64 s[42:43], s[68:69], exec
	s_or_b64 s[42:43], vcc, s[42:43]
	v_mov_b32_e32 v1, v3
.LBB8_97:                               ;   in Loop: Header=BB8_98 Depth=2
	s_or_b64 exec, exec, s[64:65]
	s_waitcnt vmcnt(0) lgkmcnt(0)
	v_add_co_u32_e32 v14, vcc, v34, v2
	v_addc_co_u32_e32 v15, vcc, 0, v35, vcc
	v_cmp_ge_u64_e32 vcc, v[14:15], v[12:13]
	s_xor_b64 s[64:65], s[42:43], -1
	s_or_b64 vcc, s[64:65], vcc
	s_and_b64 vcc, exec, vcc
	s_or_b64 s[40:41], vcc, s[40:41]
	s_andn2_b64 exec, exec, s[40:41]
	s_cbranch_execz .LBB8_109
.LBB8_98:                               ;   Parent Loop BB8_79 Depth=1
                                        ; =>  This Inner Loop Header: Depth=2
	s_sleep 1
	flat_load_dwordx2 v[34:35], v[22:23] glc
	v_and_b32_e32 v3, 64, v46
	v_cmp_eq_u32_e32 vcc, 0, v3
	s_andn2_b64 s[42:43], s[42:43], exec
	s_and_saveexec_b64 s[64:65], vcc
	s_cbranch_execz .LBB8_97
; %bb.99:                               ;   in Loop: Header=BB8_98 Depth=2
	v_add_u32_e32 v3, 1, v1
	v_cmp_lt_i32_e32 vcc, s81, v1
	s_mov_b64 s[68:69], -1
	s_and_saveexec_b64 s[66:67], vcc
	s_cbranch_execz .LBB8_96
; %bb.100:                              ;   in Loop: Header=BB8_98 Depth=2
	s_trap 2
	ds_read_b64 v[14:15], v0
	s_waitcnt vmcnt(0) lgkmcnt(0)
	flat_load_dword v1, v[14:15] glc
	s_waitcnt vmcnt(0) lgkmcnt(0)
	buffer_invl2
	buffer_wbinvl1_vol
	v_cmp_ne_u32_e32 vcc, 0, v1
	s_and_saveexec_b64 s[70:71], vcc
	s_cbranch_execz .LBB8_95
; %bb.101:                              ;   in Loop: Header=BB8_98 Depth=2
	v_or_b32_e32 v46, 64, v46
	s_xor_b64 s[68:69], exec, -1
	ds_write_b32 v0, v1
	s_trap 2
	s_branch .LBB8_95
.LBB8_102:                              ;   in Loop: Header=BB8_105 Depth=2
	s_or_b64 exec, exec, s[72:73]
	v_mov_b32_e32 v10, 0
	s_orn2_b64 s[70:71], s[70:71], exec
.LBB8_103:                              ;   in Loop: Header=BB8_105 Depth=2
	s_or_b64 exec, exec, s[68:69]
	s_andn2_b64 vcc, s[42:43], exec
	s_and_b64 s[42:43], s[70:71], exec
	s_or_b64 s[42:43], vcc, s[42:43]
	v_mov_b32_e32 v1, v10
.LBB8_104:                              ;   in Loop: Header=BB8_105 Depth=2
	s_or_b64 exec, exec, s[66:67]
	s_waitcnt vmcnt(0) lgkmcnt(0)
	v_add_co_u32_e32 v12, vcc, 8, v34
	v_addc_co_u32_e32 v13, vcc, 0, v35, vcc
	v_cmp_ge_u64_e32 vcc, v[12:13], v[2:3]
	s_xor_b64 s[66:67], s[42:43], -1
	s_or_b64 vcc, s[66:67], vcc
	s_and_b64 vcc, exec, vcc
	s_or_b64 s[40:41], vcc, s[40:41]
	s_andn2_b64 exec, exec, s[40:41]
	s_cbranch_execz .LBB8_137
.LBB8_105:                              ;   Parent Loop BB8_79 Depth=1
                                        ; =>  This Inner Loop Header: Depth=2
	s_sleep 1
	flat_load_dwordx2 v[34:35], v[22:23] glc
	v_and_b32_e32 v10, 64, v46
	v_cmp_eq_u32_e32 vcc, 0, v10
	s_andn2_b64 s[42:43], s[42:43], exec
	s_and_saveexec_b64 s[66:67], vcc
	s_cbranch_execz .LBB8_104
; %bb.106:                              ;   in Loop: Header=BB8_105 Depth=2
	v_add_u32_e32 v10, 1, v1
	v_cmp_lt_i32_e32 vcc, s81, v1
	s_mov_b64 s[70:71], -1
	s_and_saveexec_b64 s[68:69], vcc
	s_cbranch_execz .LBB8_103
; %bb.107:                              ;   in Loop: Header=BB8_105 Depth=2
	s_trap 2
	ds_read_b64 v[12:13], v0
	s_waitcnt vmcnt(0) lgkmcnt(0)
	flat_load_dword v1, v[12:13] glc
	s_waitcnt vmcnt(0) lgkmcnt(0)
	buffer_invl2
	buffer_wbinvl1_vol
	v_cmp_ne_u32_e32 vcc, 0, v1
	s_and_saveexec_b64 s[72:73], vcc
	s_cbranch_execz .LBB8_102
; %bb.108:                              ;   in Loop: Header=BB8_105 Depth=2
	v_or_b32_e32 v46, 64, v46
	s_xor_b64 s[70:71], exec, -1
	ds_write_b32 v0, v1
	s_trap 2
	s_branch .LBB8_102
.LBB8_109:                              ;   in Loop: Header=BB8_79 Depth=1
	s_or_b64 exec, exec, s[40:41]
	v_and_b32_e32 v1, 12, v46
.LBB8_110:                              ;   in Loop: Header=BB8_79 Depth=1
	s_or_b64 exec, exec, s[38:39]
	v_cmp_eq_u32_e32 vcc, 0, v1
	s_orn2_b64 s[38:39], vcc, exec
	;;#ASMSTART
	s_wakeup
	;;#ASMEND
.LBB8_111:                              ;   in Loop: Header=BB8_79 Depth=1
	s_or_b64 exec, exec, s[36:37]
	s_xor_b64 vcc, s[38:39], -1
	v_min_i32_e32 v42, v42, v53
	s_and_saveexec_b64 s[38:39], vcc
	s_cbranch_execz .LBB8_125
; %bb.112:                              ;   in Loop: Header=BB8_79 Depth=1
	v_and_b32_e32 v1, 0x108, v46
	v_cmp_ne_u32_e32 vcc, s82, v1
                                        ; implicit-def: $vgpr2_vgpr3
	s_and_saveexec_b64 s[36:37], vcc
	s_xor_b64 vcc, exec, s[36:37]
; %bb.113:                              ;   in Loop: Header=BB8_79 Depth=1
	v_and_b32_e32 v2, 7, v8
	v_mov_b32_e32 v3, v36
; %bb.114:                              ;   in Loop: Header=BB8_79 Depth=1
	s_andn2_saveexec_b64 vcc, vcc
	s_cbranch_execz .LBB8_116
; %bb.115:                              ;   in Loop: Header=BB8_79 Depth=1
	v_and_b32_e32 v2, 7, v8
	v_mov_b32_e32 v3, v36
	v_mad_u64_u32 v[12:13], s[36:37], v2, 24, v[6:7]
	v_ashrrev_i32_e32 v43, 31, v42
	flat_store_dwordx2 v[12:13], v[42:43] offset:8
.LBB8_116:                              ;   in Loop: Header=BB8_79 Depth=1
	s_or_b64 exec, exec, vcc
	v_and_b32_e32 v1, 0x100, v46
	v_cmp_ne_u32_e32 vcc, 0, v1
	s_mov_b64 s[36:37], -1
                                        ; implicit-def: $vgpr12_vgpr13
	s_and_saveexec_b64 s[40:41], vcc
	s_cbranch_execz .LBB8_120
; %bb.117:                              ;   in Loop: Header=BB8_79 Depth=1
	v_mad_u64_u32 v[14:15], vcc, v2, 24, v[6:7]
	v_mov_b32_e32 v10, v15
	v_mad_u64_u32 v[12:13], vcc, v3, 24, v[10:11]
	v_mov_b32_e32 v15, v12
	flat_load_dword v1, v[14:15]
                                        ; implicit-def: $vgpr12_vgpr13
	s_waitcnt vmcnt(0) lgkmcnt(0)
	v_cmp_ne_u32_e32 vcc, 1, v1
	v_cmp_eq_u32_e64 s[36:37], 1, v1
	s_and_saveexec_b64 s[42:43], s[36:37]
	s_cbranch_execz .LBB8_119
; %bb.118:                              ;   in Loop: Header=BB8_79 Depth=1
	flat_load_dword v12, v[14:15] offset:4 glc
	s_waitcnt vmcnt(0) lgkmcnt(0)
	v_ashrrev_i32_e32 v13, 31, v12
.LBB8_119:                              ;   in Loop: Header=BB8_79 Depth=1
	s_or_b64 exec, exec, s[42:43]
	s_orn2_b64 s[36:37], vcc, exec
.LBB8_120:                              ;   in Loop: Header=BB8_79 Depth=1
	s_or_b64 exec, exec, s[40:41]
	s_and_saveexec_b64 vcc, s[36:37]
; %bb.121:                              ;   in Loop: Header=BB8_79 Depth=1
	v_mul_lo_u32 v1, v3, v52
	v_accvgpr_read_b32 v3, a7
	v_mul_lo_u32 v3, v2, v3
	v_mad_u64_u32 v[12:13], s[36:37], v2, v52, 0
	v_add3_u32 v13, v13, v3, v1
; %bb.122:                              ;   in Loop: Header=BB8_79 Depth=1
	s_or_b64 exec, exec, vcc
	v_add_co_u32_e32 v2, vcc, v32, v12
	v_addc_co_u32_e32 v3, vcc, v33, v13, vcc
	v_and_b32_e32 v1, 0x2000, v46
	v_cmp_ne_u32_e32 vcc, 0, v1
	s_trap 2
	ds_write_b64 v0, v[2:3]
	s_and_saveexec_b64 s[36:37], vcc
	s_cbranch_execz .LBB8_124
; %bb.123:                              ;   in Loop: Header=BB8_79 Depth=1
	ds_read_b64 v[2:3], v0 offset:584
	s_waitcnt lgkmcnt(0)
	v_add_co_u32_e32 v2, vcc, 1, v2
	v_addc_co_u32_e32 v3, vcc, 0, v3, vcc
	ds_write_b64 v0, v[2:3] offset:584
.LBB8_124:                              ;   in Loop: Header=BB8_79 Depth=1
	s_or_b64 exec, exec, s[36:37]
	v_add_co_u32_e32 v8, vcc, 1, v8
	v_addc_co_u32_e32 v9, vcc, 0, v9, vcc
.LBB8_125:                              ;   in Loop: Header=BB8_79 Depth=1
	s_or_b64 exec, exec, s[38:39]
	s_and_saveexec_b64 s[36:37], s[14:15]
	s_cbranch_execz .LBB8_168
; %bb.126:                              ;   in Loop: Header=BB8_79 Depth=1
	s_and_saveexec_b64 vcc, s[52:53]
	s_xor_b64 s[38:39], exec, vcc
	s_cbranch_execz .LBB8_165
; %bb.127:                              ;   in Loop: Header=BB8_79 Depth=1
	s_and_saveexec_b64 s[40:41], s[20:21]
	s_cbranch_execz .LBB8_164
; %bb.128:                              ;   in Loop: Header=BB8_79 Depth=1
	s_mov_b64 s[64:65], exec
	v_mbcnt_lo_u32_b32 v1, s64, 0
	v_mbcnt_hi_u32_b32 v1, s65, v1
	v_cmp_eq_u32_e32 vcc, 0, v1
	s_waitcnt vmcnt(0) lgkmcnt(0)
	buffer_wbinvl1_vol
	s_and_saveexec_b64 s[42:43], vcc
	s_cbranch_execz .LBB8_130
; %bb.129:                              ;   in Loop: Header=BB8_79 Depth=1
	s_bcnt1_i32_b64 vcc_lo, s[64:65]
	v_mov_b32_e32 v2, vcc_lo
	v_mov_b32_e32 v3, v36
	ds_add_u64 v0, v[2:3]
	s_trap 2
.LBB8_130:                              ;   in Loop: Header=BB8_79 Depth=1
	s_or_b64 exec, exec, s[42:43]
	s_trap 2
	ds_read_b64 v[2:3], v0
	v_add_co_u32_e32 v28, vcc, v28, v30
	v_addc_co_u32_e32 v29, vcc, 0, v29, vcc
	s_waitcnt lgkmcnt(0)
	v_cmp_lt_u64_e32 vcc, v[2:3], v[28:29]
	s_and_saveexec_b64 s[42:43], vcc
	s_cbranch_execz .LBB8_163
; %bb.131:                              ;   in Loop: Header=BB8_79 Depth=1
	s_mov_b32 s74, 0
	s_mov_b64 s[64:65], 0
                                        ; implicit-def: $sgpr66_sgpr67
                                        ; implicit-def: $sgpr68_sgpr69
	s_branch .LBB8_133
.LBB8_132:                              ;   in Loop: Header=BB8_133 Depth=2
	s_or_b64 exec, exec, s[72:73]
	s_and_b64 vcc, exec, vcc
	s_or_b64 s[64:65], vcc, s[64:65]
	s_andn2_b64 vcc, s[66:67], exec
	s_and_b64 s[66:67], s[68:69], exec
	s_or_b64 s[66:67], vcc, s[66:67]
	s_andn2_b64 exec, exec, s[64:65]
	s_cbranch_execz .LBB8_161
.LBB8_133:                              ;   Parent Loop BB8_79 Depth=1
                                        ; =>  This Inner Loop Header: Depth=2
	s_add_i32 s74, s74, 1
	s_cmpk_lg_i32 s74, 0x2710
	s_cselect_b64 s[70:71], -1, 0
	s_and_b64 vcc, exec, s[70:71]
                                        ; implicit-def: $sgpr72_sgpr73
	s_cbranch_vccnz .LBB8_135
; %bb.134:                              ;   in Loop: Header=BB8_133 Depth=2
	s_trap 2
	ds_read_b64 v[2:3], v0
	s_andn2_b64 s[70:71], s[70:71], exec
	s_mov_b32 s74, 0
	s_mov_b64 s[72:73], -1
	s_waitcnt lgkmcnt(0)
	flat_load_dword v1, v[2:3] glc
	s_waitcnt vmcnt(0) lgkmcnt(0)
	buffer_invl2
	buffer_wbinvl1_vol
	v_cmp_eq_u32_e32 vcc, 0, v1
	s_and_b64 vcc, vcc, exec
	s_or_b64 s[70:71], s[70:71], vcc
.LBB8_135:                              ;   in Loop: Header=BB8_133 Depth=2
	s_andn2_b64 s[68:69], s[68:69], exec
	s_and_b64 s[72:73], s[72:73], exec
	s_mov_b64 vcc, -1
	s_or_b64 s[68:69], s[68:69], s[72:73]
	s_and_saveexec_b64 s[72:73], s[70:71]
	s_cbranch_execz .LBB8_132
; %bb.136:                              ;   in Loop: Header=BB8_133 Depth=2
	s_sleep 1
	s_trap 2
	ds_read_b64 v[2:3], v0
	s_andn2_b64 s[68:69], s[68:69], exec
	s_waitcnt lgkmcnt(0)
	v_cmp_ge_u64_e32 vcc, v[2:3], v[28:29]
	s_orn2_b64 vcc, vcc, exec
	s_branch .LBB8_132
.LBB8_137:                              ;   in Loop: Header=BB8_79 Depth=1
	s_or_b64 exec, exec, s[40:41]
	v_and_b32_e32 v1, 8, v46
.LBB8_138:                              ;   in Loop: Header=BB8_79 Depth=1
	s_or_b64 exec, exec, s[38:39]
	v_cmp_eq_u32_e32 vcc, 0, v1
	s_orn2_b64 s[38:39], vcc, exec
	;;#ASMSTART
	s_wakeup
	;;#ASMEND
.LBB8_139:                              ;   in Loop: Header=BB8_79 Depth=1
	s_or_b64 exec, exec, s[36:37]
	s_xor_b64 vcc, s[38:39], -1
	v_min_i32_e32 v42, v42, v53
	s_and_saveexec_b64 s[38:39], vcc
	s_cbranch_execz .LBB8_149
; %bb.140:                              ;   in Loop: Header=BB8_79 Depth=1
	v_and_b32_e32 v1, 0x100, v46
	v_cmp_ne_u32_e32 vcc, 0, v1
	v_and_b32_e32 v1, 7, v8
	s_mov_b64 s[36:37], -1
                                        ; implicit-def: $vgpr2_vgpr3
	s_and_saveexec_b64 s[40:41], vcc
	s_cbranch_execz .LBB8_144
; %bb.141:                              ;   in Loop: Header=BB8_79 Depth=1
	v_mad_u64_u32 v[12:13], vcc, v1, 24, v[6:7]
	flat_load_dword v2, v[12:13]
	v_ashrrev_i32_e32 v43, 31, v42
	flat_store_dwordx2 v[12:13], v[42:43] offset:8
	s_waitcnt vmcnt(0) lgkmcnt(0)
	v_cmp_ne_u32_e32 vcc, 1, v2
	v_cmp_eq_u32_e64 s[36:37], 1, v2
                                        ; implicit-def: $vgpr2_vgpr3
	s_and_saveexec_b64 s[42:43], s[36:37]
	s_cbranch_execz .LBB8_143
; %bb.142:                              ;   in Loop: Header=BB8_79 Depth=1
	flat_load_dword v2, v[12:13] offset:4 glc
	s_waitcnt vmcnt(0) lgkmcnt(0)
	v_ashrrev_i32_e32 v3, 31, v2
.LBB8_143:                              ;   in Loop: Header=BB8_79 Depth=1
	s_or_b64 exec, exec, s[42:43]
	s_orn2_b64 s[36:37], vcc, exec
.LBB8_144:                              ;   in Loop: Header=BB8_79 Depth=1
	s_or_b64 exec, exec, s[40:41]
	s_and_saveexec_b64 vcc, s[36:37]
; %bb.145:                              ;   in Loop: Header=BB8_79 Depth=1
	v_mad_i64_i32 v[2:3], s[36:37], v1, v52, 0
; %bb.146:                              ;   in Loop: Header=BB8_79 Depth=1
	s_or_b64 exec, exec, vcc
	v_add_co_u32_e32 v2, vcc, v32, v2
	v_addc_co_u32_e32 v3, vcc, v33, v3, vcc
	v_and_b32_e32 v1, 0x2000, v46
	v_cmp_ne_u32_e32 vcc, 0, v1
	ds_write_b64 v0, v[2:3] offset:792
	s_and_saveexec_b64 s[36:37], vcc
	s_cbranch_execz .LBB8_148
; %bb.147:                              ;   in Loop: Header=BB8_79 Depth=1
	ds_read_b64 v[2:3], v0 offset:584
	s_waitcnt lgkmcnt(0)
	v_add_co_u32_e32 v2, vcc, 1, v2
	v_addc_co_u32_e32 v3, vcc, 0, v3, vcc
	ds_write_b64 v0, v[2:3] offset:584
.LBB8_148:                              ;   in Loop: Header=BB8_79 Depth=1
	s_or_b64 exec, exec, s[36:37]
	v_add_co_u32_e32 v8, vcc, 1, v8
	v_addc_co_u32_e32 v9, vcc, 0, v9, vcc
.LBB8_149:                              ;   in Loop: Header=BB8_79 Depth=1
	s_or_b64 exec, exec, s[38:39]
	s_and_saveexec_b64 s[36:37], s[14:15]
	s_cbranch_execz .LBB8_187
; %bb.150:                              ;   in Loop: Header=BB8_79 Depth=1
	s_and_saveexec_b64 vcc, s[52:53]
	s_xor_b64 s[38:39], exec, vcc
	s_cbranch_execz .LBB8_184
; %bb.151:                              ;   in Loop: Header=BB8_79 Depth=1
	s_and_saveexec_b64 s[40:41], s[20:21]
	s_cbranch_execz .LBB8_183
; %bb.152:                              ;   in Loop: Header=BB8_79 Depth=1
	s_mov_b64 s[66:67], exec
	v_mbcnt_lo_u32_b32 v1, s66, 0
	v_mbcnt_hi_u32_b32 v1, s67, v1
	v_cmp_eq_u32_e32 vcc, 0, v1
	s_waitcnt vmcnt(0) lgkmcnt(0)
	buffer_wbinvl1_vol
	s_and_saveexec_b64 s[42:43], vcc
	s_cbranch_execz .LBB8_154
; %bb.153:                              ;   in Loop: Header=BB8_79 Depth=1
	s_bcnt1_i32_b64 vcc_lo, s[66:67]
	v_mov_b32_e32 v2, vcc_lo
	v_mov_b32_e32 v3, v36
	ds_add_u64 v0, v[2:3]
	s_trap 2
.LBB8_154:                              ;   in Loop: Header=BB8_79 Depth=1
	s_or_b64 exec, exec, s[42:43]
	s_trap 2
	ds_read_b64 v[2:3], v0
	v_add_co_u32_e32 v28, vcc, v28, v30
	v_addc_co_u32_e32 v29, vcc, 0, v29, vcc
	s_waitcnt lgkmcnt(0)
	v_cmp_lt_u64_e32 vcc, v[2:3], v[28:29]
	s_and_saveexec_b64 s[42:43], vcc
	s_cbranch_execz .LBB8_182
; %bb.155:                              ;   in Loop: Header=BB8_79 Depth=1
	s_mov_b32 s76, 0
	s_mov_b64 s[66:67], 0
                                        ; implicit-def: $sgpr68_sgpr69
                                        ; implicit-def: $sgpr70_sgpr71
	s_branch .LBB8_157
.LBB8_156:                              ;   in Loop: Header=BB8_157 Depth=2
	s_or_b64 exec, exec, s[74:75]
	s_and_b64 vcc, exec, vcc
	s_or_b64 s[66:67], vcc, s[66:67]
	s_andn2_b64 vcc, s[68:69], exec
	s_and_b64 s[68:69], s[70:71], exec
	s_or_b64 s[68:69], vcc, s[68:69]
	s_andn2_b64 exec, exec, s[66:67]
	s_cbranch_execz .LBB8_180
.LBB8_157:                              ;   Parent Loop BB8_79 Depth=1
                                        ; =>  This Inner Loop Header: Depth=2
	s_add_i32 s76, s76, 1
	s_cmpk_lg_i32 s76, 0x2710
	s_cselect_b64 s[72:73], -1, 0
	s_and_b64 vcc, exec, s[72:73]
                                        ; implicit-def: $sgpr74_sgpr75
	s_cbranch_vccnz .LBB8_159
; %bb.158:                              ;   in Loop: Header=BB8_157 Depth=2
	s_trap 2
	ds_read_b64 v[2:3], v0
	s_andn2_b64 s[72:73], s[72:73], exec
	s_mov_b32 s76, 0
	s_mov_b64 s[74:75], -1
	s_waitcnt lgkmcnt(0)
	flat_load_dword v1, v[2:3] glc
	s_waitcnt vmcnt(0) lgkmcnt(0)
	buffer_invl2
	buffer_wbinvl1_vol
	v_cmp_eq_u32_e32 vcc, 0, v1
	s_and_b64 vcc, vcc, exec
	s_or_b64 s[72:73], s[72:73], vcc
.LBB8_159:                              ;   in Loop: Header=BB8_157 Depth=2
	s_andn2_b64 s[70:71], s[70:71], exec
	s_and_b64 s[74:75], s[74:75], exec
	s_mov_b64 vcc, -1
	s_or_b64 s[70:71], s[70:71], s[74:75]
	s_and_saveexec_b64 s[74:75], s[72:73]
	s_cbranch_execz .LBB8_156
; %bb.160:                              ;   in Loop: Header=BB8_157 Depth=2
	s_sleep 1
	s_trap 2
	ds_read_b64 v[2:3], v0
	s_andn2_b64 s[70:71], s[70:71], exec
	s_waitcnt lgkmcnt(0)
	v_cmp_ge_u64_e32 vcc, v[2:3], v[28:29]
	s_orn2_b64 vcc, vcc, exec
	s_branch .LBB8_156
.LBB8_161:                              ;   in Loop: Header=BB8_79 Depth=1
	s_or_b64 exec, exec, s[64:65]
	s_and_saveexec_b64 vcc, s[66:67]
	s_xor_b64 vcc, exec, vcc
	s_cbranch_execz .LBB8_163
; %bb.162:                              ;   in Loop: Header=BB8_79 Depth=1
	ds_write_b32 v0, v58
	s_trap 2
.LBB8_163:                              ;   in Loop: Header=BB8_79 Depth=1
	s_or_b64 exec, exec, s[42:43]
	;;#ASMSTART
	s_wakeup
	;;#ASMEND
.LBB8_164:                              ;   in Loop: Header=BB8_79 Depth=1
	s_or_b64 exec, exec, s[40:41]
.LBB8_165:                              ;   in Loop: Header=BB8_79 Depth=1
	s_andn2_saveexec_b64 vcc, s[38:39]
	s_cbranch_execz .LBB8_167
; %bb.166:                              ;   in Loop: Header=BB8_79 Depth=1
	s_waitcnt vmcnt(0) lgkmcnt(0)
	buffer_wbinvl1_vol
	s_barrier
.LBB8_167:                              ;   in Loop: Header=BB8_79 Depth=1
	s_or_b64 exec, exec, vcc
.LBB8_168:                              ;   in Loop: Header=BB8_79 Depth=1
	s_or_b64 exec, exec, s[36:37]
	s_trap 2
	ds_read_b32 v1, v0
	v_and_b32_e32 v2, 0x4000, v46
	v_cmp_ne_u32_e32 vcc, 0, v2
	s_xor_b64 s[36:37], s[12:13], -1
	s_and_b64 vcc, s[36:37], vcc
	s_and_saveexec_b64 s[36:37], vcc
	s_cbranch_execz .LBB8_206
; %bb.169:                              ;   in Loop: Header=BB8_79 Depth=1
	s_and_saveexec_b64 vcc, s[52:53]
	s_xor_b64 s[38:39], exec, vcc
	s_cbranch_execz .LBB8_203
; %bb.170:                              ;   in Loop: Header=BB8_79 Depth=1
	s_and_saveexec_b64 s[40:41], s[20:21]
	s_cbranch_execz .LBB8_202
; %bb.171:                              ;   in Loop: Header=BB8_79 Depth=1
	s_mov_b64 s[64:65], exec
	v_mbcnt_lo_u32_b32 v2, s64, 0
	v_mbcnt_hi_u32_b32 v2, s65, v2
	v_cmp_eq_u32_e32 vcc, 0, v2
	s_waitcnt vmcnt(0) lgkmcnt(0)
	buffer_wbinvl1_vol
	s_and_saveexec_b64 s[42:43], vcc
	s_cbranch_execz .LBB8_173
; %bb.172:                              ;   in Loop: Header=BB8_79 Depth=1
	s_bcnt1_i32_b64 vcc_lo, s[64:65]
	v_mov_b32_e32 v2, vcc_lo
	v_mov_b32_e32 v3, v36
	ds_add_u64 v0, v[2:3]
	s_trap 2
.LBB8_173:                              ;   in Loop: Header=BB8_79 Depth=1
	s_or_b64 exec, exec, s[42:43]
	s_trap 2
	ds_read_b64 v[2:3], v0
	v_add_co_u32_e32 v28, vcc, v28, v30
	v_addc_co_u32_e32 v29, vcc, 0, v29, vcc
	s_waitcnt lgkmcnt(0)
	v_cmp_lt_u64_e32 vcc, v[2:3], v[28:29]
	s_and_saveexec_b64 s[42:43], vcc
	s_cbranch_execz .LBB8_201
; %bb.174:                              ;   in Loop: Header=BB8_79 Depth=1
	s_mov_b32 s74, 0
	s_mov_b64 s[64:65], 0
                                        ; implicit-def: $sgpr66_sgpr67
                                        ; implicit-def: $sgpr68_sgpr69
	s_branch .LBB8_176
.LBB8_175:                              ;   in Loop: Header=BB8_176 Depth=2
	s_or_b64 exec, exec, s[72:73]
	s_and_b64 vcc, exec, vcc
	s_or_b64 s[64:65], vcc, s[64:65]
	s_andn2_b64 vcc, s[66:67], exec
	s_and_b64 s[66:67], s[68:69], exec
	s_or_b64 s[66:67], vcc, s[66:67]
	s_andn2_b64 exec, exec, s[64:65]
	s_cbranch_execz .LBB8_199
.LBB8_176:                              ;   Parent Loop BB8_79 Depth=1
                                        ; =>  This Inner Loop Header: Depth=2
	s_add_i32 s74, s74, 1
	s_cmpk_lg_i32 s74, 0x2710
	s_cselect_b64 s[70:71], -1, 0
	s_and_b64 vcc, exec, s[70:71]
                                        ; implicit-def: $sgpr72_sgpr73
	s_cbranch_vccnz .LBB8_178
; %bb.177:                              ;   in Loop: Header=BB8_176 Depth=2
	s_trap 2
	ds_read_b64 v[2:3], v0
	s_andn2_b64 s[70:71], s[70:71], exec
	s_mov_b32 s74, 0
	s_mov_b64 s[72:73], -1
	s_waitcnt lgkmcnt(0)
	flat_load_dword v2, v[2:3] glc
	s_waitcnt vmcnt(0) lgkmcnt(0)
	buffer_invl2
	buffer_wbinvl1_vol
	v_cmp_eq_u32_e32 vcc, 0, v2
	s_and_b64 vcc, vcc, exec
	s_or_b64 s[70:71], s[70:71], vcc
.LBB8_178:                              ;   in Loop: Header=BB8_176 Depth=2
	s_andn2_b64 s[68:69], s[68:69], exec
	s_and_b64 s[72:73], s[72:73], exec
	s_mov_b64 vcc, -1
	s_or_b64 s[68:69], s[68:69], s[72:73]
	s_and_saveexec_b64 s[72:73], s[70:71]
	s_cbranch_execz .LBB8_175
; %bb.179:                              ;   in Loop: Header=BB8_176 Depth=2
	s_sleep 1
	s_trap 2
	ds_read_b64 v[2:3], v0
	s_andn2_b64 s[68:69], s[68:69], exec
	s_waitcnt lgkmcnt(0)
	v_cmp_ge_u64_e32 vcc, v[2:3], v[28:29]
	s_orn2_b64 vcc, vcc, exec
	s_branch .LBB8_175
.LBB8_180:                              ;   in Loop: Header=BB8_79 Depth=1
	s_or_b64 exec, exec, s[66:67]
	s_and_saveexec_b64 vcc, s[68:69]
	s_xor_b64 vcc, exec, vcc
	s_cbranch_execz .LBB8_182
; %bb.181:                              ;   in Loop: Header=BB8_79 Depth=1
	ds_write_b32 v0, v58
	s_trap 2
.LBB8_182:                              ;   in Loop: Header=BB8_79 Depth=1
	s_or_b64 exec, exec, s[42:43]
	;;#ASMSTART
	s_wakeup
	;;#ASMEND
.LBB8_183:                              ;   in Loop: Header=BB8_79 Depth=1
	s_or_b64 exec, exec, s[40:41]
.LBB8_184:                              ;   in Loop: Header=BB8_79 Depth=1
	s_andn2_saveexec_b64 vcc, s[38:39]
	s_cbranch_execz .LBB8_186
; %bb.185:                              ;   in Loop: Header=BB8_79 Depth=1
	s_waitcnt vmcnt(0) lgkmcnt(0)
	buffer_wbinvl1_vol
	s_barrier
.LBB8_186:                              ;   in Loop: Header=BB8_79 Depth=1
	s_or_b64 exec, exec, vcc
.LBB8_187:                              ;   in Loop: Header=BB8_79 Depth=1
	s_or_b64 exec, exec, s[36:37]
	s_trap 2
	ds_read_b32 v1, v0
	v_and_b32_e32 v2, 0x4000, v46
	v_cmp_ne_u32_e32 vcc, 0, v2
	s_xor_b64 s[36:37], s[12:13], -1
	s_and_b64 vcc, s[36:37], vcc
	s_and_saveexec_b64 s[36:37], vcc
	s_cbranch_execz .LBB8_293
; %bb.188:                              ;   in Loop: Header=BB8_79 Depth=1
	s_and_saveexec_b64 vcc, s[52:53]
	s_xor_b64 s[38:39], exec, vcc
	s_cbranch_execz .LBB8_290
; %bb.189:                              ;   in Loop: Header=BB8_79 Depth=1
	s_and_saveexec_b64 s[40:41], s[20:21]
	s_cbranch_execz .LBB8_289
; %bb.190:                              ;   in Loop: Header=BB8_79 Depth=1
	s_mov_b64 s[66:67], exec
	v_mbcnt_lo_u32_b32 v2, s66, 0
	v_mbcnt_hi_u32_b32 v2, s67, v2
	v_cmp_eq_u32_e32 vcc, 0, v2
	s_waitcnt vmcnt(0) lgkmcnt(0)
	buffer_wbinvl1_vol
	s_and_saveexec_b64 s[42:43], vcc
	s_cbranch_execz .LBB8_192
; %bb.191:                              ;   in Loop: Header=BB8_79 Depth=1
	s_bcnt1_i32_b64 vcc_lo, s[66:67]
	v_mov_b32_e32 v2, vcc_lo
	v_mov_b32_e32 v3, v36
	ds_add_u64 v0, v[2:3]
	s_trap 2
.LBB8_192:                              ;   in Loop: Header=BB8_79 Depth=1
	s_or_b64 exec, exec, s[42:43]
	s_trap 2
	ds_read_b64 v[2:3], v0
	v_add_co_u32_e32 v28, vcc, v28, v30
	v_addc_co_u32_e32 v29, vcc, 0, v29, vcc
	s_waitcnt lgkmcnt(0)
	v_cmp_lt_u64_e32 vcc, v[2:3], v[28:29]
	s_and_saveexec_b64 s[42:43], vcc
	s_cbranch_execz .LBB8_288
; %bb.193:                              ;   in Loop: Header=BB8_79 Depth=1
	s_mov_b32 s76, 0
	s_mov_b64 s[66:67], 0
                                        ; implicit-def: $sgpr68_sgpr69
                                        ; implicit-def: $sgpr70_sgpr71
	s_branch .LBB8_195
.LBB8_194:                              ;   in Loop: Header=BB8_195 Depth=2
	s_or_b64 exec, exec, s[74:75]
	s_and_b64 vcc, exec, vcc
	s_or_b64 s[66:67], vcc, s[66:67]
	s_andn2_b64 vcc, s[68:69], exec
	s_and_b64 s[68:69], s[70:71], exec
	s_or_b64 s[68:69], vcc, s[68:69]
	s_andn2_b64 exec, exec, s[66:67]
	s_cbranch_execz .LBB8_286
.LBB8_195:                              ;   Parent Loop BB8_79 Depth=1
                                        ; =>  This Inner Loop Header: Depth=2
	s_add_i32 s76, s76, 1
	s_cmpk_lg_i32 s76, 0x2710
	s_cselect_b64 s[72:73], -1, 0
	s_and_b64 vcc, exec, s[72:73]
                                        ; implicit-def: $sgpr74_sgpr75
	s_cbranch_vccnz .LBB8_197
; %bb.196:                              ;   in Loop: Header=BB8_195 Depth=2
	s_trap 2
	ds_read_b64 v[2:3], v0
	s_andn2_b64 s[72:73], s[72:73], exec
	s_mov_b32 s76, 0
	s_mov_b64 s[74:75], -1
	s_waitcnt lgkmcnt(0)
	flat_load_dword v2, v[2:3] glc
	s_waitcnt vmcnt(0) lgkmcnt(0)
	buffer_invl2
	buffer_wbinvl1_vol
	v_cmp_eq_u32_e32 vcc, 0, v2
	s_and_b64 vcc, vcc, exec
	s_or_b64 s[72:73], s[72:73], vcc
.LBB8_197:                              ;   in Loop: Header=BB8_195 Depth=2
	s_andn2_b64 s[70:71], s[70:71], exec
	s_and_b64 s[74:75], s[74:75], exec
	s_mov_b64 vcc, -1
	s_or_b64 s[70:71], s[70:71], s[74:75]
	s_and_saveexec_b64 s[74:75], s[72:73]
	s_cbranch_execz .LBB8_194
; %bb.198:                              ;   in Loop: Header=BB8_195 Depth=2
	s_sleep 1
	s_trap 2
	ds_read_b64 v[2:3], v0
	s_andn2_b64 s[70:71], s[70:71], exec
	s_waitcnt lgkmcnt(0)
	v_cmp_ge_u64_e32 vcc, v[2:3], v[28:29]
	s_orn2_b64 vcc, vcc, exec
	s_branch .LBB8_194
.LBB8_199:                              ;   in Loop: Header=BB8_79 Depth=1
	s_or_b64 exec, exec, s[64:65]
	s_and_saveexec_b64 vcc, s[66:67]
	s_xor_b64 vcc, exec, vcc
	s_cbranch_execz .LBB8_201
; %bb.200:                              ;   in Loop: Header=BB8_79 Depth=1
	ds_write_b32 v0, v58
	s_trap 2
.LBB8_201:                              ;   in Loop: Header=BB8_79 Depth=1
	s_or_b64 exec, exec, s[42:43]
	;;#ASMSTART
	s_wakeup
	;;#ASMEND
.LBB8_202:                              ;   in Loop: Header=BB8_79 Depth=1
	s_or_b64 exec, exec, s[40:41]
.LBB8_203:                              ;   in Loop: Header=BB8_79 Depth=1
	s_andn2_saveexec_b64 vcc, s[38:39]
	s_cbranch_execz .LBB8_205
; %bb.204:                              ;   in Loop: Header=BB8_79 Depth=1
	s_waitcnt vmcnt(0) lgkmcnt(0)
	buffer_wbinvl1_vol
	s_barrier
.LBB8_205:                              ;   in Loop: Header=BB8_79 Depth=1
	s_or_b64 exec, exec, vcc
.LBB8_206:                              ;   in Loop: Header=BB8_79 Depth=1
	s_or_b64 exec, exec, s[36:37]
	s_trap 2
	ds_read_b64 v[2:3], v0
	s_mov_b64 s[36:37], 0
	s_waitcnt lgkmcnt(0)
	v_readfirstlane_b32 vcc_lo, v2
	v_readfirstlane_b32 vcc_hi, v3
	s_cmp_eq_u64 vcc, 0
	s_cselect_b64 vcc, -1, 0
	s_or_b64 vcc, vcc, vcc
	s_and_b64 vcc, exec, vcc
	s_cbranch_vccnz .LBB8_240
; %bb.207:                              ;   in Loop: Header=BB8_79 Depth=1
	s_trap 2
	ds_read_b64 v[2:3], v0
	v_cmp_eq_u32_e64 s[36:37], 0, v1
	v_cndmask_b32_e64 v37, 0, v42, s[36:37]
	s_waitcnt lgkmcnt(0)
	v_cmp_ne_u64_e32 vcc, 0, v[2:3]
	s_cbranch_vccz .LBB8_245
; %bb.208:                              ;   in Loop: Header=BB8_79 Depth=1
	s_mov_b64 s[38:39], -1
	s_and_saveexec_b64 s[36:37], s[22:23]
	s_cbranch_execz .LBB8_210
; %bb.209:                              ;   in Loop: Header=BB8_79 Depth=1
	ds_read_b32 v1, v0 offset:720
	s_waitcnt lgkmcnt(0)
	v_and_b32_e32 v1, 15, v1
	v_cmp_eq_u32_e32 vcc, 0, v1
	s_orn2_b64 s[38:39], vcc, exec
.LBB8_210:                              ;   in Loop: Header=BB8_79 Depth=1
	s_or_b64 exec, exec, s[36:37]
	s_and_saveexec_b64 s[36:37], s[24:25]
	s_cbranch_execz .LBB8_212
; %bb.211:                              ;   in Loop: Header=BB8_79 Depth=1
	ds_read_b32 v1, v0 offset:784
	s_waitcnt lgkmcnt(0)
	v_and_b32_e32 v1, 15, v1
	v_cmp_eq_u32_e32 vcc, 0, v1
	s_and_b64 vcc, s[38:39], vcc
	s_andn2_b64 s[38:39], s[38:39], exec
	s_and_b64 vcc, vcc, exec
	s_or_b64 s[38:39], s[38:39], vcc
.LBB8_212:                              ;   in Loop: Header=BB8_79 Depth=1
	s_or_b64 exec, exec, s[36:37]
	s_xor_b64 vcc, s[38:39], -1
	v_cndmask_b32_e64 v1, 0, 1, vcc
	;;#ASMSTART
	;;#ASMEND
	s_mov_b64 s[36:37], -1
	v_cmp_ne_u32_e32 vcc, 0, v1
	v_mov_b32_e32 v1, 0
	v_mov_b32_e32 v10, v37
	;; [unrolled: 1-line block ×4, first 2 shown]
	s_cbranch_vccnz .LBB8_228
; %bb.213:                              ;   in Loop: Header=BB8_79 Depth=1
	v_ashrrev_i32_e32 v1, 31, v37
	v_lshrrev_b32_e32 v1, 21, v1
	v_add_u32_e32 v1, v37, v1
	v_ashrrev_i32_e32 v1, 11, v1
	v_sub_u32_e32 v49, v1, v57
	v_cmp_lt_i32_e32 vcc, 0, v49
	s_and_saveexec_b64 s[36:37], vcc
	s_cbranch_execz .LBB8_217
; %bb.214:                              ;   in Loop: Header=BB8_79 Depth=1
	s_trap 2
	ds_read_b64 v[2:3], v0
	ds_read_b128 v[12:15], v0
	v_accvgpr_read_b32 v10, a20
	v_accvgpr_read_b32 v11, a21
	s_mov_b64 s[38:39], 0
	s_waitcnt lgkmcnt(0)
	v_add_co_u32_e32 v2, vcc, v2, v10
	v_addc_co_u32_e32 v3, vcc, v3, v11, vcc
	v_add_co_u32_e32 v12, vcc, v12, v10
	v_addc_co_u32_e32 v13, vcc, v13, v11, vcc
	;; [unrolled: 2-line block ×3, first 2 shown]
.LBB8_215:                              ;   Parent Loop BB8_79 Depth=1
                                        ; =>  This Inner Loop Header: Depth=2
	global_load_dwordx4 v[24:27], v[2:3], off glc slc
	global_load_dwordx4 v[54:57], v[2:3], off offset:1024 glc slc
	v_add_co_u32_e32 v2, vcc, v2, v59
	v_addc_co_u32_e32 v3, vcc, v3, v60, vcc
	v_sub_u32_e32 v49, v49, v30
	v_cmp_gt_i32_e32 vcc, 1, v49
	s_or_b64 s[38:39], vcc, s[38:39]
	s_waitcnt vmcnt(0)
	global_store_dwordx4 v[12:13], v[24:27], off glc slc
	global_store_dwordx4 v[12:13], v[54:57], off offset:1024 glc slc
	global_store_dwordx4 v[14:15], v[24:27], off glc slc
	global_store_dwordx4 v[14:15], v[54:57], off offset:1024 glc slc
	v_add_co_u32_e32 v12, vcc, v12, v59
	v_addc_co_u32_e32 v13, vcc, v13, v60, vcc
	v_add_co_u32_e32 v14, vcc, v14, v59
	v_addc_co_u32_e32 v15, vcc, v15, v60, vcc
	s_andn2_b64 exec, exec, s[38:39]
	s_cbranch_execnz .LBB8_215
; %bb.216:                              ;   in Loop: Header=BB8_79 Depth=1
	s_or_b64 exec, exec, s[38:39]
	v_accvgpr_read_b32 v55, a17
	v_accvgpr_read_b32 v56, a12
	;; [unrolled: 1-line block ×4, first 2 shown]
.LBB8_217:                              ;   in Loop: Header=BB8_79 Depth=1
	s_or_b64 exec, exec, s[36:37]
	v_lshlrev_b32_e32 v25, 11, v1
	v_cmp_ne_u32_e32 vcc, v37, v25
	s_mov_b64 s[36:37], 0
	v_mov_b32_e32 v1, 0
                                        ; implicit-def: $vgpr10
                                        ; implicit-def: $vgpr43
                                        ; implicit-def: $vgpr2
	s_and_saveexec_b64 s[64:65], vcc
	s_cbranch_execz .LBB8_227
; %bb.218:                              ;   in Loop: Header=BB8_79 Depth=1
	v_lshlrev_b32_e32 v1, 6, v49
	v_accvgpr_read_b32 v3, a18
	v_sub_u32_e32 v1, v3, v1
	v_ashrrev_i32_e32 v3, 31, v1
	v_lshrrev_b32_e32 v3, 26, v3
	v_add_u32_e32 v3, v1, v3
	v_sub_u32_e32 v2, v37, v25
	v_ashrrev_i32_e32 v10, 6, v3
	v_and_b32_e32 v3, 0xffffffc0, v3
	v_sub_u32_e32 v40, v1, v3
	v_ashrrev_i32_e32 v3, 31, v2
	v_lshrrev_b32_e32 v3, 22, v3
	v_add_u32_e32 v3, v2, v3
	v_and_b32_e32 v41, 0xfffffc00, v3
	v_lshlrev_b32_e32 v1, 4, v40
	v_sub_u32_e32 v49, v2, v41
	v_lshl_add_u32 v1, v10, 10, v1
	v_ashrrev_i32_e32 v11, 10, v3
	v_cmp_lt_i32_e64 s[36:37], 15, v49
	v_sub_u32_e32 v43, v2, v1
	v_addc_co_u32_e64 v2, vcc, 0, v11, s[36:37]
	v_sub_u32_e32 v58, v2, v10
	v_cmp_lt_i32_e32 vcc, 15, v43
	s_and_saveexec_b64 s[66:67], vcc
	s_cbranch_execz .LBB8_224
; %bb.219:                              ;   in Loop: Header=BB8_79 Depth=1
	s_trap 2
	ds_read_b64 v[2:3], v0
	ds_read_b128 v[12:15], v0
	v_add_u32_e32 v10, v1, v25
	v_ashrrev_i32_e32 v11, 31, v10
	s_mov_b64 s[68:69], 0
	s_waitcnt lgkmcnt(0)
	v_add_co_u32_e32 v44, vcc, v2, v10
	v_addc_co_u32_e32 v45, vcc, v3, v11, vcc
	v_add_co_u32_e32 v2, vcc, v12, v10
	v_addc_co_u32_e32 v1, vcc, v13, v11, vcc
	;; [unrolled: 2-line block ×3, first 2 shown]
.LBB8_220:                              ;   Parent Loop BB8_79 Depth=1
                                        ; =>  This Loop Header: Depth=2
                                        ;       Child Loop BB8_221 Depth 3
	global_load_dwordx4 v[12:15], v[44:45], off glc slc
	s_mov_b64 s[72:73], -1
	s_mov_b64 s[70:71], 0
	s_waitcnt vmcnt(0)
.LBB8_221:                              ;   Parent Loop BB8_79 Depth=1
                                        ;     Parent Loop BB8_220 Depth=2
                                        ; =>    This Inner Loop Header: Depth=3
	s_cmp_eq_u32 s70, 0
	s_cselect_b64 s[38:39], -1, 0
	s_cmp_eq_u32 s70, 1
	s_cselect_b64 s[42:43], -1, 0
	v_cndmask_b32_e64 v11, 0, 1, s[72:73]
	v_cndmask_b32_e64 v26, v2, v10, s[42:43]
	v_cmp_ne_u32_e64 s[40:41], 1, v11
	v_cndmask_b32_e64 v27, v1, v3, s[42:43]
	v_add_co_u32_e32 v11, vcc, 0x400, v26
	v_addc_co_u32_e32 v24, vcc, 0, v27, vcc
	s_mov_b64 s[72:73], 0
	s_mov_b64 s[70:71], 1
	v_cndmask_b32_e64 v10, v10, v11, s[42:43]
	s_and_b64 vcc, exec, s[40:41]
	v_cndmask_b32_e64 v3, v3, v24, s[42:43]
	v_cndmask_b32_e64 v1, v1, v24, s[38:39]
	v_cndmask_b32_e64 v2, v2, v11, s[38:39]
	global_store_dwordx4 v[26:27], v[12:15], off glc slc
	s_cbranch_vccz .LBB8_221
; %bb.222:                              ;   in Loop: Header=BB8_220 Depth=2
	v_add_co_u32_e32 v2, vcc, v2, v48
	v_accvgpr_read_b32 v11, a19
	v_addc_co_u32_e32 v1, vcc, v1, v11, vcc
	v_add_co_u32_e32 v10, vcc, v10, v48
	v_addc_co_u32_e32 v3, vcc, v3, v11, vcc
	v_add_co_u32_e32 v44, vcc, v18, v44
	v_addc_co_u32_e32 v45, vcc, v19, v45, vcc
	v_sub_u32_e32 v43, v43, v31
	v_cmp_gt_i32_e32 vcc, 16, v43
	s_or_b64 s[68:69], vcc, s[68:69]
	v_sub_u32_e32 v58, v58, v30
	s_andn2_b64 exec, exec, s[68:69]
	s_cbranch_execnz .LBB8_220
; %bb.223:                              ;   in Loop: Header=BB8_79 Depth=1
	s_or_b64 exec, exec, s[68:69]
	v_accvgpr_read_b32 v45, a9
	v_accvgpr_read_b32 v52, a6
	;; [unrolled: 1-line block ×3, first 2 shown]
.LBB8_224:                              ;   in Loop: Header=BB8_79 Depth=1
	s_or_b64 exec, exec, s[66:67]
	v_and_b32_e32 v3, 15, v37
	v_cndmask_b32_e64 v10, v49, v3, s[36:37]
	v_cmp_ne_u32_e32 vcc, 0, v10
	s_mov_b64 s[38:39], 0
	v_mov_b32_e32 v1, 0
                                        ; implicit-def: $vgpr43
                                        ; implicit-def: $vgpr2
	s_and_saveexec_b64 s[40:41], vcc
	s_cbranch_execz .LBB8_226
; %bb.225:                              ;   in Loop: Header=BB8_79 Depth=1
	v_cmp_lt_i32_e32 vcc, 0, v58
	v_cndmask_b32_e32 v2, 0, v30, vcc
	v_sub_u32_e32 v2, v2, v58
	v_lshl_add_u32 v43, v2, 6, v40
	v_ashrrev_i32_e32 v2, 31, v43
	v_sub_u32_e32 v1, v49, v3
	v_lshrrev_b32_e32 v2, 26, v2
	v_cndmask_b32_e64 v1, 0, v1, s[36:37]
	v_add_u32_e32 v2, v43, v2
	s_mov_b64 s[38:39], exec
	v_add3_u32 v1, v41, v25, v1
	v_ashrrev_i32_e32 v2, 6, v2
.LBB8_226:                              ;   in Loop: Header=BB8_79 Depth=1
	s_or_b64 exec, exec, s[40:41]
	s_and_b64 s[36:37], s[38:39], exec
	v_mov_b32_e32 v58, 1
.LBB8_227:                              ;   in Loop: Header=BB8_79 Depth=1
	s_or_b64 exec, exec, s[64:65]
.LBB8_228:                              ;   in Loop: Header=BB8_79 Depth=1
	s_and_saveexec_b64 s[40:41], s[36:37]
	s_cbranch_execz .LBB8_239
; %bb.229:                              ;   in Loop: Header=BB8_79 Depth=1
	v_ashrrev_i32_e32 v3, 31, v10
	v_lshrrev_b32_e32 v3, 22, v3
	v_add_u32_e32 v3, v10, v3
	v_ashrrev_i32_e32 v41, 10, v3
	v_sub_u32_e32 v25, v41, v2
	v_cmp_lt_i32_e32 vcc, 0, v25
	v_ashrrev_i32_e32 v40, 31, v43
	s_and_saveexec_b64 s[36:37], vcc
	s_cbranch_execz .LBB8_233
; %bb.230:                              ;   in Loop: Header=BB8_79 Depth=1
	s_trap 2
	v_lshrrev_b32_e32 v3, 26, v40
	ds_read_b64 v[26:27], v0
	ds_read_b128 v[12:15], v0
	v_add_u32_e32 v3, v43, v3
	v_and_b32_e32 v3, 0xffffffc0, v3
	v_sub_u32_e32 v3, v43, v3
	v_lshlrev_b32_e32 v2, 10, v2
	v_add3_u32 v11, v1, v3, v2
	v_ashrrev_i32_e32 v24, 31, v11
	s_waitcnt lgkmcnt(0)
	v_add_co_u32_e32 v2, vcc, v12, v11
	v_addc_co_u32_e32 v3, vcc, v13, v24, vcc
	v_add_co_u32_e32 v12, vcc, v14, v11
	v_addc_co_u32_e32 v13, vcc, v15, v24, vcc
	;; [unrolled: 2-line block ×3, first 2 shown]
	v_add_co_u32_e32 v14, vcc, v14, v11
	v_accvgpr_write_b32 a10, v36
	v_addc_co_u32_e32 v15, vcc, v15, v24, vcc
	s_mov_b64 s[38:39], 0
.LBB8_231:                              ;   Parent Loop BB8_79 Depth=1
                                        ; =>  This Inner Loop Header: Depth=2
	v_add_co_u32_e32 v44, vcc, 0xfffffc40, v14
	v_addc_co_u32_e32 v45, vcc, -1, v15, vcc
	v_add_co_u32_e32 v26, vcc, 0xfffffc80, v14
	v_addc_co_u32_e32 v27, vcc, -1, v15, vcc
	;; [unrolled: 2-line block ×3, first 2 shown]
	flat_load_ubyte v44, v[44:45] glc slc
	v_sub_u32_e32 v25, v25, v30
	flat_load_ubyte v45, v[26:27] glc slc
	v_add_co_u32_e32 v26, vcc, 0xfffffd00, v14
	v_addc_co_u32_e32 v27, vcc, -1, v15, vcc
	flat_load_ubyte v58, v[50:51] glc slc
	v_add_co_u32_e32 v50, vcc, 0xfffffd40, v14
	v_addc_co_u32_e32 v51, vcc, -1, v15, vcc
	;; [unrolled: 3-line block ×4, first 2 shown]
	flat_load_ubyte v31, v[26:27] glc slc
	v_add_co_u32_e32 v26, vcc, 0xfffffe00, v14
	flat_load_ubyte v49, v[14:15] glc slc
	v_addc_co_u32_e32 v27, vcc, -1, v15, vcc
	flat_load_ubyte v36, v[50:51] glc slc
	v_add_co_u32_e32 v50, vcc, 0xfffffe40, v14
	v_addc_co_u32_e32 v51, vcc, -1, v15, vcc
	flat_load_ubyte v48, v[26:27] glc slc
	v_add_co_u32_e32 v26, vcc, 0xfffffe80, v14
	;; [unrolled: 3-line block ×7, first 2 shown]
	flat_load_ubyte v26, v[26:27] glc slc
	v_addc_co_u32_e32 v51, vcc, -1, v15, vcc
	flat_load_ubyte v27, v[50:51] glc slc
	v_cmp_gt_i32_e32 vcc, 1, v25
	s_or_b64 s[38:39], vcc, s[38:39]
	v_add_co_u32_e32 v14, vcc, v14, v18
	v_addc_co_u32_e32 v15, vcc, v15, v19, vcc
	s_waitcnt vmcnt(0) lgkmcnt(0)
	flat_store_byte v[2:3], v49 offset:960 glc slc
	flat_store_byte v[2:3], v44 glc slc
	flat_store_byte v[2:3], v45 offset:64 glc slc
	flat_store_byte v[2:3], v58 offset:128 glc slc
	;; [unrolled: 1-line block ×14, first 2 shown]
	flat_store_byte v[12:13], v44 glc slc
	flat_store_byte v[12:13], v45 offset:64 glc slc
	flat_store_byte v[12:13], v58 offset:128 glc slc
	;; [unrolled: 1-line block ×15, first 2 shown]
	v_add_co_u32_e32 v2, vcc, v2, v18
	v_addc_co_u32_e32 v3, vcc, v3, v19, vcc
	v_add_co_u32_e32 v12, vcc, v12, v18
	v_addc_co_u32_e32 v13, vcc, v13, v19, vcc
	s_andn2_b64 exec, exec, s[38:39]
	s_cbranch_execnz .LBB8_231
; %bb.232:                              ;   in Loop: Header=BB8_79 Depth=1
	s_or_b64 exec, exec, s[38:39]
	v_accvgpr_read_b32 v45, a9
	v_accvgpr_read_b32 v55, a17
	;; [unrolled: 1-line block ×5, first 2 shown]
	v_mov_b32_e32 v58, 1
	v_accvgpr_read_b32 v31, a11
	v_accvgpr_read_b32 v56, a12
	v_accvgpr_read_b32 v48, a14
	v_accvgpr_read_b32 v51, a13
	v_accvgpr_read_b32 v54, a16
	v_accvgpr_read_b32 v57, a15
.LBB8_233:                              ;   in Loop: Header=BB8_79 Depth=1
	s_or_b64 exec, exec, s[36:37]
	v_lshlrev_b32_e32 v2, 10, v41
	v_cmp_ne_u32_e32 vcc, v10, v2
	s_and_b64 exec, exec, vcc
	s_cbranch_execz .LBB8_239
; %bb.234:                              ;   in Loop: Header=BB8_79 Depth=1
	v_lshrrev_b32_e32 v3, 26, v40
	v_add_u32_e32 v3, v43, v3
	v_and_b32_e32 v3, 0xffffffc0, v3
	v_sub_u32_e32 v3, v43, v3
	v_lshlrev_b32_e32 v11, 6, v25
	v_sub_u32_e32 v3, v3, v11
	v_add_u32_e32 v2, v2, v3
	v_sub_u32_e32 v14, v10, v2
	v_cmp_lt_i32_e32 vcc, 0, v14
	s_and_b64 exec, exec, vcc
	s_cbranch_execz .LBB8_239
; %bb.235:                              ;   in Loop: Header=BB8_79 Depth=1
	s_trap 2
	ds_read_b64 v[12:13], v0
	ds_read_b128 v[24:27], v0
	v_add_u32_e32 v3, v2, v1
	v_ashrrev_i32_e32 v11, 31, v3
	s_mov_b64 s[42:43], 0
	s_waitcnt lgkmcnt(0)
	v_add_co_u32_e32 v12, vcc, v12, v3
	v_addc_co_u32_e32 v13, vcc, v13, v11, vcc
	v_add_co_u32_e32 v2, vcc, v24, v3
	v_addc_co_u32_e32 v1, vcc, v25, v11, vcc
	;; [unrolled: 2-line block ×3, first 2 shown]
.LBB8_236:                              ;   Parent Loop BB8_79 Depth=1
                                        ; =>  This Loop Header: Depth=2
                                        ;       Child Loop BB8_237 Depth 3
	flat_load_ubyte v15, v[12:13] glc slc
	s_mov_b64 s[64:65], -1
	s_mov_b64 s[66:67], 0
	s_waitcnt vmcnt(0)
.LBB8_237:                              ;   Parent Loop BB8_79 Depth=1
                                        ;     Parent Loop BB8_236 Depth=2
                                        ; =>    This Inner Loop Header: Depth=3
	s_cmp_eq_u32 s66, 1
	s_cselect_b64 vcc, -1, 0
	v_cndmask_b32_e32 v24, v2, v10, vcc
	v_cndmask_b32_e32 v25, v1, v3, vcc
	v_add_co_u32_e64 v11, s[36:37], 64, v24
	s_cmp_eq_u32 s66, 0
	s_waitcnt lgkmcnt(0)
	flat_store_byte v[24:25], v15 glc slc
	v_addc_co_u32_e64 v24, s[36:37], 0, v25, s[36:37]
	s_cselect_b64 s[36:37], -1, 0
	s_and_b64 s[38:39], exec, s[64:65]
	s_mov_b64 s[66:67], 1
	s_mov_b64 s[64:65], 0
	v_cndmask_b32_e32 v3, v3, v24, vcc
	v_cndmask_b32_e32 v10, v10, v11, vcc
	v_cndmask_b32_e64 v1, v1, v24, s[36:37]
	v_cndmask_b32_e64 v2, v2, v11, s[36:37]
	s_mov_b64 vcc, s[38:39]
	s_cbranch_vccnz .LBB8_237
; %bb.238:                              ;   in Loop: Header=BB8_236 Depth=2
	v_add_co_u32_e32 v2, vcc, v2, v56
	v_addc_co_u32_e32 v1, vcc, v1, v51, vcc
	v_add_co_u32_e32 v10, vcc, v10, v56
	v_addc_co_u32_e32 v3, vcc, v3, v51, vcc
	v_sub_u32_e32 v14, v14, v47
	v_cmp_gt_i32_e32 vcc, 1, v14
	s_or_b64 s[42:43], vcc, s[42:43]
	v_add_co_u32_e32 v12, vcc, v61, v12
	v_addc_co_u32_e32 v13, vcc, v62, v13, vcc
	s_andn2_b64 exec, exec, s[42:43]
	s_cbranch_execnz .LBB8_236
.LBB8_239:                              ;   in Loop: Header=BB8_79 Depth=1
	s_or_b64 exec, exec, s[40:41]
	s_branch .LBB8_274
.LBB8_240:                              ;   in Loop: Header=BB8_79 Depth=1
	s_and_saveexec_b64 s[38:39], s[14:15]
	s_cbranch_execnz .LBB8_275
.LBB8_241:                              ;   in Loop: Header=BB8_79 Depth=1
	s_or_b64 exec, exec, s[38:39]
                                        ; implicit-def: $vgpr1
	s_and_saveexec_b64 vcc, s[28:29]
	s_xor_b64 s[38:39], exec, vcc
	s_cbranch_execz .LBB8_381
.LBB8_242:                              ;   in Loop: Header=BB8_79 Depth=1
	v_and_b32_e32 v2, 16, v46
	v_cmp_ne_u32_e32 vcc, 0, v2
	v_and_b32_e32 v1, 16, v46
	s_and_b64 s[36:37], vcc, s[36:37]
	s_and_saveexec_b64 vcc, s[36:37]
	s_cbranch_execz .LBB8_244
; %bb.243:                              ;   in Loop: Header=BB8_79 Depth=1
	v_mov_b32_e32 v1, 1
	s_waitcnt vmcnt(0) lgkmcnt(0)
	buffer_wbinvl1_vol
.LBB8_244:                              ;   in Loop: Header=BB8_79 Depth=1
	s_or_b64 exec, exec, vcc
	s_andn2_saveexec_b64 s[36:37], s[38:39]
	s_cbranch_execz .LBB8_419
	s_branch .LBB8_382
.LBB8_245:                              ;   in Loop: Header=BB8_79 Depth=1
	s_cbranch_execz .LBB8_274
; %bb.246:                              ;   in Loop: Header=BB8_79 Depth=1
	s_mov_b64 s[36:37], -1
	s_and_saveexec_b64 s[38:39], s[22:23]
	s_cbranch_execz .LBB8_248
; %bb.247:                              ;   in Loop: Header=BB8_79 Depth=1
	ds_read_b32 v1, v0 offset:720
	s_waitcnt lgkmcnt(0)
	v_and_b32_e32 v1, 15, v1
	v_cmp_eq_u32_e32 vcc, 0, v1
	s_orn2_b64 s[36:37], vcc, exec
.LBB8_248:                              ;   in Loop: Header=BB8_79 Depth=1
	s_or_b64 exec, exec, s[38:39]
	s_and_saveexec_b64 s[38:39], s[26:27]
	s_cbranch_execz .LBB8_250
; %bb.249:                              ;   in Loop: Header=BB8_79 Depth=1
	ds_read_b32 v1, v0 offset:784
	s_waitcnt lgkmcnt(0)
	v_and_b32_e32 v1, 15, v1
	v_cmp_eq_u32_e32 vcc, 0, v1
	s_and_b64 vcc, s[36:37], vcc
	s_andn2_b64 s[36:37], s[36:37], exec
	s_and_b64 vcc, vcc, exec
	s_or_b64 s[36:37], s[36:37], vcc
.LBB8_250:                              ;   in Loop: Header=BB8_79 Depth=1
	s_or_b64 exec, exec, s[38:39]
	s_xor_b64 vcc, s[36:37], -1
	v_cndmask_b32_e64 v1, 0, 1, vcc
	;;#ASMSTART
	;;#ASMEND
	s_mov_b64 s[40:41], -1
	v_cmp_ne_u32_e32 vcc, 0, v1
	v_mov_b32_e32 v14, 0
	v_mov_b32_e32 v15, v37
	;; [unrolled: 1-line block ×4, first 2 shown]
	s_cbranch_vccnz .LBB8_264
; %bb.251:                              ;   in Loop: Header=BB8_79 Depth=1
	v_ashrrev_i32_e32 v1, 31, v37
	v_lshrrev_b32_e32 v1, 21, v1
	v_add_u32_e32 v1, v37, v1
	v_ashrrev_i32_e32 v1, 11, v1
	v_sub_u32_e32 v10, v1, v57
	v_cmp_lt_i32_e32 vcc, 0, v10
	s_and_saveexec_b64 s[36:37], vcc
	s_cbranch_execz .LBB8_255
; %bb.252:                              ;   in Loop: Header=BB8_79 Depth=1
	s_trap 2
	ds_read_b64 v[2:3], v0
	v_accvgpr_read_b32 v12, a20
	s_mov_b64 s[38:39], 0
	v_accvgpr_read_b32 v13, a21
.LBB8_253:                              ;   Parent Loop BB8_79 Depth=1
                                        ; =>  This Inner Loop Header: Depth=2
	s_waitcnt lgkmcnt(0)
	v_add_co_u32_e32 v14, vcc, v2, v12
	v_addc_co_u32_e32 v15, vcc, v3, v13, vcc
	global_load_dwordx4 v[24:27], v[14:15], off glc slc
	global_load_dwordx4 v[48:51], v[14:15], off offset:1024 glc slc
	v_add_co_u32_e32 v12, vcc, v12, v59
	v_sub_u32_e32 v10, v10, v30
	v_addc_co_u32_e32 v13, vcc, v13, v60, vcc
	v_cmp_gt_i32_e32 vcc, 1, v10
	s_or_b64 s[38:39], vcc, s[38:39]
	s_waitcnt vmcnt(0)
	global_store_dwordx4 v[14:15], v[24:27], off glc slc
	global_store_dwordx4 v[14:15], v[48:51], off offset:1024 glc slc
	s_andn2_b64 exec, exec, s[38:39]
	s_cbranch_execnz .LBB8_253
; %bb.254:                              ;   in Loop: Header=BB8_79 Depth=1
	s_or_b64 exec, exec, s[38:39]
	v_accvgpr_read_b32 v48, a14
	v_accvgpr_read_b32 v51, a13
.LBB8_255:                              ;   in Loop: Header=BB8_79 Depth=1
	s_or_b64 exec, exec, s[36:37]
	v_lshlrev_b32_e32 v12, 11, v1
	v_cmp_ne_u32_e32 vcc, v37, v12
	s_mov_b64 s[40:41], 0
	v_mov_b32_e32 v14, 0
                                        ; implicit-def: $vgpr15
                                        ; implicit-def: $vgpr25
                                        ; implicit-def: $vgpr1
	s_and_saveexec_b64 s[38:39], vcc
	s_cbranch_execz .LBB8_263
; %bb.256:                              ;   in Loop: Header=BB8_79 Depth=1
	v_lshlrev_b32_e32 v1, 6, v10
	v_accvgpr_read_b32 v3, a18
	v_sub_u32_e32 v1, v3, v1
	v_ashrrev_i32_e32 v3, 31, v1
	v_lshrrev_b32_e32 v3, 26, v3
	v_add_u32_e32 v3, v1, v3
	v_sub_u32_e32 v2, v37, v12
	v_ashrrev_i32_e32 v10, 6, v3
	v_and_b32_e32 v3, 0xffffffc0, v3
	v_sub_u32_e32 v13, v1, v3
	v_ashrrev_i32_e32 v3, 31, v2
	v_lshrrev_b32_e32 v3, 22, v3
	v_add_u32_e32 v3, v2, v3
	v_and_b32_e32 v49, 0xfffffc00, v3
	v_lshlrev_b32_e32 v1, 4, v13
	v_sub_u32_e32 v41, v2, v49
	v_lshl_add_u32 v1, v10, 10, v1
	v_ashrrev_i32_e32 v11, 10, v3
	v_cmp_lt_i32_e32 vcc, 15, v41
	v_sub_u32_e32 v14, v2, v1
	v_addc_co_u32_e64 v2, s[36:37], 0, v11, vcc
	v_sub_u32_e32 v40, v2, v10
	v_cmp_lt_i32_e64 s[36:37], 15, v14
	s_and_saveexec_b64 s[40:41], s[36:37]
	s_cbranch_execz .LBB8_260
; %bb.257:                              ;   in Loop: Header=BB8_79 Depth=1
	s_trap 2
	ds_read_b64 v[2:3], v0
	v_add_u32_e32 v10, v1, v12
	v_ashrrev_i32_e32 v1, 31, v10
	s_mov_b64 s[42:43], 0
.LBB8_258:                              ;   Parent Loop BB8_79 Depth=1
                                        ; =>  This Inner Loop Header: Depth=2
	s_waitcnt lgkmcnt(0)
	v_add_co_u32_e64 v50, s[36:37], v2, v10
	v_addc_co_u32_e64 v51, s[36:37], v3, v1, s[36:37]
	global_load_dwordx4 v[24:27], v[50:51], off glc slc
	v_add_co_u32_e64 v10, s[36:37], v10, v18
	v_sub_u32_e32 v14, v14, v31
	v_addc_co_u32_e64 v1, s[36:37], v1, v19, s[36:37]
	v_cmp_gt_i32_e64 s[36:37], 16, v14
	v_sub_u32_e32 v40, v40, v30
	s_or_b64 s[42:43], s[36:37], s[42:43]
	s_waitcnt vmcnt(0)
	global_store_dwordx4 v[50:51], v[24:27], off glc slc
	s_andn2_b64 exec, exec, s[42:43]
	s_cbranch_execnz .LBB8_258
; %bb.259:                              ;   in Loop: Header=BB8_79 Depth=1
	s_or_b64 exec, exec, s[42:43]
	v_accvgpr_read_b32 v48, a14
	v_accvgpr_read_b32 v51, a13
.LBB8_260:                              ;   in Loop: Header=BB8_79 Depth=1
	s_or_b64 exec, exec, s[40:41]
	v_and_b32_e32 v2, 15, v37
	v_cndmask_b32_e32 v15, v41, v2, vcc
	v_cmp_ne_u32_e64 s[36:37], 0, v15
	s_mov_b64 s[40:41], 0
	v_mov_b32_e32 v14, 0
                                        ; implicit-def: $vgpr25
                                        ; implicit-def: $vgpr1
	s_and_saveexec_b64 s[42:43], s[36:37]
	s_cbranch_execz .LBB8_262
; %bb.261:                              ;   in Loop: Header=BB8_79 Depth=1
	v_sub_u32_e32 v1, v41, v2
	v_cndmask_b32_e32 v1, 0, v1, vcc
	v_cmp_lt_i32_e32 vcc, 0, v40
	v_add3_u32 v14, v49, v12, v1
	v_cndmask_b32_e32 v1, 0, v30, vcc
	v_sub_u32_e32 v1, v1, v40
	v_lshl_add_u32 v25, v1, 6, v13
	v_ashrrev_i32_e32 v1, 31, v25
	v_lshrrev_b32_e32 v1, 26, v1
	v_add_u32_e32 v1, v25, v1
	s_mov_b64 s[40:41], exec
	v_ashrrev_i32_e32 v1, 6, v1
.LBB8_262:                              ;   in Loop: Header=BB8_79 Depth=1
	s_or_b64 exec, exec, s[42:43]
	s_and_b64 s[40:41], s[40:41], exec
.LBB8_263:                              ;   in Loop: Header=BB8_79 Depth=1
	s_or_b64 exec, exec, s[38:39]
.LBB8_264:                              ;   in Loop: Header=BB8_79 Depth=1
	s_and_saveexec_b64 s[36:37], s[40:41]
	s_cbranch_execz .LBB8_273
; %bb.265:                              ;   in Loop: Header=BB8_79 Depth=1
	v_ashrrev_i32_e32 v2, 31, v15
	v_lshrrev_b32_e32 v2, 22, v2
	v_add_u32_e32 v2, v15, v2
	v_ashrrev_i32_e32 v40, 10, v2
	v_sub_u32_e32 v49, v40, v1
	v_cmp_lt_i32_e32 vcc, 0, v49
	s_and_saveexec_b64 s[38:39], vcc
	s_cbranch_execz .LBB8_269
; %bb.266:                              ;   in Loop: Header=BB8_79 Depth=1
	v_ashrrev_i32_e32 v10, 31, v25
	s_trap 2
	ds_read_b64 v[2:3], v0
	v_lshrrev_b32_e32 v10, 26, v10
	v_add_u32_e32 v10, v25, v10
	v_and_b32_e32 v10, 0xffffffc0, v10
	v_sub_u32_e32 v10, v25, v10
	v_lshlrev_b32_e32 v1, 10, v1
	v_add3_u32 v10, v14, v10, v1
	v_accvgpr_write_b32 a10, v36
	v_ashrrev_i32_e32 v1, 31, v10
	s_mov_b64 s[40:41], 0
	s_waitcnt lgkmcnt(0)
	v_pk_mov_b32 v[12:13], v[2:3], v[2:3] op_sel:[0,1]
.LBB8_267:                              ;   Parent Loop BB8_79 Depth=1
                                        ; =>  This Inner Loop Header: Depth=2
	v_add_co_u32_e32 v26, vcc, v10, v12
	v_addc_co_u32_e32 v27, vcc, v1, v13, vcc
	flat_load_ubyte v11, v[26:27] glc slc
	flat_load_ubyte v24, v[26:27] offset:64 glc slc
	flat_load_ubyte v31, v[26:27] offset:128 glc slc
	;; [unrolled: 1-line block ×15, first 2 shown]
	v_add_co_u32_e32 v26, vcc, v10, v2
	v_addc_co_u32_e32 v27, vcc, v1, v3, vcc
	v_add_co_u32_e32 v12, vcc, v12, v18
	v_addc_co_u32_e32 v13, vcc, v13, v19, vcc
	v_add_co_u32_e32 v2, vcc, v2, v18
	v_sub_u32_e32 v49, v49, v30
	v_addc_co_u32_e32 v3, vcc, v3, v19, vcc
	v_cmp_gt_i32_e32 vcc, 1, v49
	s_or_b64 s[40:41], vcc, s[40:41]
	s_waitcnt vmcnt(0) lgkmcnt(0)
	flat_store_byte v[26:27], v11 glc slc
	flat_store_byte v[26:27], v24 offset:64 glc slc
	flat_store_byte v[26:27], v31 offset:128 glc slc
	;; [unrolled: 1-line block ×15, first 2 shown]
	s_andn2_b64 exec, exec, s[40:41]
	s_cbranch_execnz .LBB8_267
; %bb.268:                              ;   in Loop: Header=BB8_79 Depth=1
	s_or_b64 exec, exec, s[40:41]
	v_accvgpr_read_b32 v45, a9
	v_accvgpr_read_b32 v55, a17
	;; [unrolled: 1-line block ×11, first 2 shown]
.LBB8_269:                              ;   in Loop: Header=BB8_79 Depth=1
	s_or_b64 exec, exec, s[38:39]
	v_lshlrev_b32_e32 v1, 10, v40
	v_cmp_ne_u32_e32 vcc, v15, v1
	s_and_b64 exec, exec, vcc
	s_cbranch_execz .LBB8_273
; %bb.270:                              ;   in Loop: Header=BB8_79 Depth=1
	v_ashrrev_i32_e32 v2, 31, v25
	v_lshrrev_b32_e32 v2, 26, v2
	v_add_u32_e32 v2, v25, v2
	v_and_b32_e32 v2, 0xffffffc0, v2
	v_sub_u32_e32 v2, v25, v2
	v_lshlrev_b32_e32 v3, 6, v49
	v_sub_u32_e32 v2, v2, v3
	v_add_u32_e32 v1, v1, v2
	v_sub_u32_e32 v12, v15, v1
	v_cmp_lt_i32_e32 vcc, 0, v12
	s_and_b64 exec, exec, vcc
	s_cbranch_execz .LBB8_273
; %bb.271:                              ;   in Loop: Header=BB8_79 Depth=1
	s_trap 2
	ds_read_b64 v[2:3], v0
	v_add_u32_e32 v10, v1, v14
	v_ashrrev_i32_e32 v1, 31, v10
	s_mov_b64 s[38:39], 0
.LBB8_272:                              ;   Parent Loop BB8_79 Depth=1
                                        ; =>  This Inner Loop Header: Depth=2
	s_waitcnt lgkmcnt(0)
	v_add_co_u32_e32 v14, vcc, v2, v10
	v_addc_co_u32_e32 v15, vcc, v3, v1, vcc
	flat_load_ubyte v11, v[14:15] glc slc
	v_add_co_u32_e32 v10, vcc, v10, v61
	v_sub_u32_e32 v12, v12, v47
	v_addc_co_u32_e32 v1, vcc, v1, v62, vcc
	v_cmp_gt_i32_e32 vcc, 1, v12
	s_or_b64 s[38:39], vcc, s[38:39]
	s_waitcnt vmcnt(0) lgkmcnt(0)
	flat_store_byte v[14:15], v11 glc slc
	s_andn2_b64 exec, exec, s[38:39]
	s_cbranch_execnz .LBB8_272
.LBB8_273:                              ;   in Loop: Header=BB8_79 Depth=1
	s_or_b64 exec, exec, s[36:37]
.LBB8_274:                              ;   in Loop: Header=BB8_79 Depth=1
	v_cmp_lt_i32_e64 s[36:37], 0, v37
	s_and_saveexec_b64 s[38:39], s[14:15]
	s_cbranch_execz .LBB8_241
.LBB8_275:                              ;   in Loop: Header=BB8_79 Depth=1
	s_and_saveexec_b64 vcc, s[52:53]
	s_xor_b64 s[40:41], exec, vcc
	s_cbranch_execz .LBB8_378
; %bb.276:                              ;   in Loop: Header=BB8_79 Depth=1
	s_and_saveexec_b64 s[42:43], s[20:21]
	s_cbranch_execz .LBB8_377
; %bb.277:                              ;   in Loop: Header=BB8_79 Depth=1
	s_mov_b64 s[66:67], exec
	v_mbcnt_lo_u32_b32 v1, s66, 0
	v_mbcnt_hi_u32_b32 v1, s67, v1
	v_cmp_eq_u32_e32 vcc, 0, v1
	s_waitcnt vmcnt(0) lgkmcnt(0)
	buffer_wbinvl1_vol
	s_and_saveexec_b64 s[64:65], vcc
	s_cbranch_execz .LBB8_279
; %bb.278:                              ;   in Loop: Header=BB8_79 Depth=1
	s_bcnt1_i32_b64 vcc_lo, s[66:67]
	v_mov_b32_e32 v2, vcc_lo
	v_mov_b32_e32 v3, v36
	ds_add_u64 v0, v[2:3]
	s_trap 2
.LBB8_279:                              ;   in Loop: Header=BB8_79 Depth=1
	s_or_b64 exec, exec, s[64:65]
	s_trap 2
	ds_read_b64 v[2:3], v0
	v_add_co_u32_e32 v28, vcc, v28, v30
	v_addc_co_u32_e32 v29, vcc, 0, v29, vcc
	s_waitcnt lgkmcnt(0)
	v_cmp_lt_u64_e32 vcc, v[2:3], v[28:29]
	s_and_saveexec_b64 s[64:65], vcc
	s_cbranch_execz .LBB8_376
; %bb.280:                              ;   in Loop: Header=BB8_79 Depth=1
	s_mov_b32 s76, 0
	s_mov_b64 s[66:67], 0
                                        ; implicit-def: $sgpr68_sgpr69
                                        ; implicit-def: $sgpr70_sgpr71
	s_branch .LBB8_282
.LBB8_281:                              ;   in Loop: Header=BB8_282 Depth=2
	s_or_b64 exec, exec, s[74:75]
	s_and_b64 vcc, exec, vcc
	s_or_b64 s[66:67], vcc, s[66:67]
	s_andn2_b64 vcc, s[68:69], exec
	s_and_b64 s[68:69], s[70:71], exec
	s_or_b64 s[68:69], vcc, s[68:69]
	s_andn2_b64 exec, exec, s[66:67]
	s_cbranch_execz .LBB8_374
.LBB8_282:                              ;   Parent Loop BB8_79 Depth=1
                                        ; =>  This Inner Loop Header: Depth=2
	s_add_i32 s76, s76, 1
	s_cmpk_lg_i32 s76, 0x2710
	s_cselect_b64 s[72:73], -1, 0
	s_and_b64 vcc, exec, s[72:73]
                                        ; implicit-def: $sgpr74_sgpr75
	s_cbranch_vccnz .LBB8_284
; %bb.283:                              ;   in Loop: Header=BB8_282 Depth=2
	s_trap 2
	ds_read_b64 v[2:3], v0
	s_andn2_b64 s[72:73], s[72:73], exec
	s_mov_b32 s76, 0
	s_mov_b64 s[74:75], -1
	s_waitcnt lgkmcnt(0)
	flat_load_dword v1, v[2:3] glc
	s_waitcnt vmcnt(0) lgkmcnt(0)
	buffer_invl2
	buffer_wbinvl1_vol
	v_cmp_eq_u32_e32 vcc, 0, v1
	s_and_b64 vcc, vcc, exec
	s_or_b64 s[72:73], s[72:73], vcc
.LBB8_284:                              ;   in Loop: Header=BB8_282 Depth=2
	s_andn2_b64 s[70:71], s[70:71], exec
	s_and_b64 s[74:75], s[74:75], exec
	s_mov_b64 vcc, -1
	s_or_b64 s[70:71], s[70:71], s[74:75]
	s_and_saveexec_b64 s[74:75], s[72:73]
	s_cbranch_execz .LBB8_281
; %bb.285:                              ;   in Loop: Header=BB8_282 Depth=2
	s_sleep 1
	s_trap 2
	ds_read_b64 v[2:3], v0
	s_andn2_b64 s[70:71], s[70:71], exec
	s_waitcnt lgkmcnt(0)
	v_cmp_ge_u64_e32 vcc, v[2:3], v[28:29]
	s_orn2_b64 vcc, vcc, exec
	s_branch .LBB8_281
.LBB8_286:                              ;   in Loop: Header=BB8_79 Depth=1
	s_or_b64 exec, exec, s[66:67]
	s_and_saveexec_b64 vcc, s[68:69]
	s_xor_b64 vcc, exec, vcc
	s_cbranch_execz .LBB8_288
; %bb.287:                              ;   in Loop: Header=BB8_79 Depth=1
	ds_write_b32 v0, v58
	s_trap 2
.LBB8_288:                              ;   in Loop: Header=BB8_79 Depth=1
	s_or_b64 exec, exec, s[42:43]
	;;#ASMSTART
	s_wakeup
	;;#ASMEND
.LBB8_289:                              ;   in Loop: Header=BB8_79 Depth=1
	s_or_b64 exec, exec, s[40:41]
.LBB8_290:                              ;   in Loop: Header=BB8_79 Depth=1
	s_andn2_saveexec_b64 vcc, s[38:39]
	s_cbranch_execz .LBB8_292
; %bb.291:                              ;   in Loop: Header=BB8_79 Depth=1
	s_waitcnt vmcnt(0) lgkmcnt(0)
	buffer_wbinvl1_vol
	s_barrier
.LBB8_292:                              ;   in Loop: Header=BB8_79 Depth=1
	s_or_b64 exec, exec, vcc
.LBB8_293:                              ;   in Loop: Header=BB8_79 Depth=1
	s_or_b64 exec, exec, s[36:37]
	s_trap 2
	ds_read_b64 v[2:3], v0
	s_mov_b64 s[36:37], 0
	s_waitcnt lgkmcnt(0)
	v_readfirstlane_b32 vcc_lo, v2
	v_readfirstlane_b32 vcc_hi, v3
	s_cmp_eq_u64 vcc, 0
	s_cselect_b64 vcc, -1, 0
	s_or_b64 vcc, vcc, vcc
	s_and_b64 vcc, exec, vcc
	s_cbranch_vccnz .LBB8_327
; %bb.294:                              ;   in Loop: Header=BB8_79 Depth=1
	s_trap 2
	ds_read_b64 v[2:3], v0
	v_cmp_eq_u32_e64 s[36:37], 0, v1
	v_cndmask_b32_e64 v37, 0, v42, s[36:37]
	s_waitcnt lgkmcnt(0)
	v_cmp_ne_u64_e32 vcc, 0, v[2:3]
	s_cbranch_vccz .LBB8_333
; %bb.295:                              ;   in Loop: Header=BB8_79 Depth=1
	s_mov_b64 s[38:39], -1
	s_and_saveexec_b64 s[36:37], s[26:27]
	s_cbranch_execz .LBB8_297
; %bb.296:                              ;   in Loop: Header=BB8_79 Depth=1
	ds_read_b32 v1, v0 offset:720
	s_waitcnt lgkmcnt(0)
	v_and_b32_e32 v1, 15, v1
	v_cmp_eq_u32_e32 vcc, 0, v1
	s_orn2_b64 s[38:39], vcc, exec
.LBB8_297:                              ;   in Loop: Header=BB8_79 Depth=1
	s_or_b64 exec, exec, s[36:37]
	s_and_saveexec_b64 s[36:37], s[24:25]
	s_cbranch_execz .LBB8_299
; %bb.298:                              ;   in Loop: Header=BB8_79 Depth=1
	ds_read_b32 v1, v0 offset:784
	s_waitcnt lgkmcnt(0)
	v_and_b32_e32 v1, 15, v1
	v_cmp_eq_u32_e32 vcc, 0, v1
	s_and_b64 vcc, s[38:39], vcc
	s_andn2_b64 s[38:39], s[38:39], exec
	s_and_b64 vcc, vcc, exec
	s_or_b64 s[38:39], s[38:39], vcc
.LBB8_299:                              ;   in Loop: Header=BB8_79 Depth=1
	s_or_b64 exec, exec, s[36:37]
	s_xor_b64 vcc, s[38:39], -1
	v_cndmask_b32_e64 v1, 0, 1, vcc
	;;#ASMSTART
	;;#ASMEND
	s_mov_b64 s[36:37], -1
	v_cmp_ne_u32_e32 vcc, 0, v1
	v_mov_b32_e32 v1, 0
	v_mov_b32_e32 v10, v37
	;; [unrolled: 1-line block ×4, first 2 shown]
	s_cbranch_vccnz .LBB8_315
; %bb.300:                              ;   in Loop: Header=BB8_79 Depth=1
	v_ashrrev_i32_e32 v1, 31, v37
	v_lshrrev_b32_e32 v1, 21, v1
	v_add_u32_e32 v1, v37, v1
	v_ashrrev_i32_e32 v1, 11, v1
	v_sub_u32_e32 v49, v1, v57
	v_cmp_lt_i32_e32 vcc, 0, v49
	s_and_saveexec_b64 s[36:37], vcc
	s_cbranch_execz .LBB8_304
; %bb.301:                              ;   in Loop: Header=BB8_79 Depth=1
	s_trap 2
	ds_read_b64 v[2:3], v0
	ds_read_b128 v[12:15], v0
	v_accvgpr_read_b32 v10, a20
	v_accvgpr_read_b32 v11, a21
	s_mov_b64 s[38:39], 0
	s_waitcnt lgkmcnt(0)
	v_add_co_u32_e32 v2, vcc, v2, v10
	v_addc_co_u32_e32 v3, vcc, v3, v11, vcc
	v_add_co_u32_e32 v12, vcc, v12, v10
	v_addc_co_u32_e32 v13, vcc, v13, v11, vcc
	;; [unrolled: 2-line block ×3, first 2 shown]
.LBB8_302:                              ;   Parent Loop BB8_79 Depth=1
                                        ; =>  This Inner Loop Header: Depth=2
	global_load_dwordx4 v[54:57], v[2:3], off glc slc
	global_load_dwordx4 v[24:27], v[2:3], off offset:1024 glc slc
	v_add_co_u32_e32 v2, vcc, v2, v59
	v_addc_co_u32_e32 v3, vcc, v3, v60, vcc
	v_sub_u32_e32 v49, v49, v30
	v_cmp_gt_i32_e32 vcc, 1, v49
	s_or_b64 s[38:39], vcc, s[38:39]
	s_waitcnt vmcnt(0)
	global_store_dwordx4 v[12:13], v[54:57], off glc slc
	global_store_dwordx4 v[12:13], v[24:27], off offset:1024 glc slc
	global_store_dwordx4 v[14:15], v[54:57], off glc slc
	global_store_dwordx4 v[14:15], v[24:27], off offset:1024 glc slc
	v_add_co_u32_e32 v12, vcc, v12, v59
	v_addc_co_u32_e32 v13, vcc, v13, v60, vcc
	v_add_co_u32_e32 v14, vcc, v14, v59
	v_addc_co_u32_e32 v15, vcc, v15, v60, vcc
	s_andn2_b64 exec, exec, s[38:39]
	s_cbranch_execnz .LBB8_302
; %bb.303:                              ;   in Loop: Header=BB8_79 Depth=1
	s_or_b64 exec, exec, s[38:39]
	v_accvgpr_read_b32 v55, a17
	v_accvgpr_read_b32 v56, a12
	;; [unrolled: 1-line block ×4, first 2 shown]
.LBB8_304:                              ;   in Loop: Header=BB8_79 Depth=1
	s_or_b64 exec, exec, s[36:37]
	v_lshlrev_b32_e32 v25, 11, v1
	v_cmp_ne_u32_e32 vcc, v37, v25
	s_mov_b64 s[36:37], 0
	v_mov_b32_e32 v1, 0
                                        ; implicit-def: $vgpr10
                                        ; implicit-def: $vgpr43
                                        ; implicit-def: $vgpr2
	s_and_saveexec_b64 s[66:67], vcc
	s_cbranch_execz .LBB8_314
; %bb.305:                              ;   in Loop: Header=BB8_79 Depth=1
	v_lshlrev_b32_e32 v1, 6, v49
	v_accvgpr_read_b32 v3, a18
	v_sub_u32_e32 v1, v3, v1
	v_ashrrev_i32_e32 v3, 31, v1
	v_lshrrev_b32_e32 v3, 26, v3
	v_add_u32_e32 v3, v1, v3
	v_sub_u32_e32 v2, v37, v25
	v_ashrrev_i32_e32 v10, 6, v3
	v_and_b32_e32 v3, 0xffffffc0, v3
	v_sub_u32_e32 v40, v1, v3
	v_ashrrev_i32_e32 v3, 31, v2
	v_lshrrev_b32_e32 v3, 22, v3
	v_add_u32_e32 v3, v2, v3
	v_and_b32_e32 v41, 0xfffffc00, v3
	v_lshlrev_b32_e32 v1, 4, v40
	v_sub_u32_e32 v49, v2, v41
	v_lshl_add_u32 v1, v10, 10, v1
	v_ashrrev_i32_e32 v11, 10, v3
	v_cmp_lt_i32_e64 s[36:37], 15, v49
	v_sub_u32_e32 v43, v2, v1
	v_addc_co_u32_e64 v2, vcc, 0, v11, s[36:37]
	v_sub_u32_e32 v58, v2, v10
	v_cmp_lt_i32_e32 vcc, 15, v43
	s_and_saveexec_b64 s[68:69], vcc
	s_cbranch_execz .LBB8_311
; %bb.306:                              ;   in Loop: Header=BB8_79 Depth=1
	s_trap 2
	ds_read_b64 v[2:3], v0
	ds_read_b128 v[12:15], v0
	v_add_u32_e32 v10, v1, v25
	v_ashrrev_i32_e32 v11, 31, v10
	s_mov_b64 s[70:71], 0
	s_waitcnt lgkmcnt(0)
	v_add_co_u32_e32 v44, vcc, v2, v10
	v_addc_co_u32_e32 v45, vcc, v3, v11, vcc
	v_add_co_u32_e32 v2, vcc, v12, v10
	v_addc_co_u32_e32 v1, vcc, v13, v11, vcc
	;; [unrolled: 2-line block ×3, first 2 shown]
.LBB8_307:                              ;   Parent Loop BB8_79 Depth=1
                                        ; =>  This Loop Header: Depth=2
                                        ;       Child Loop BB8_308 Depth 3
	global_load_dwordx4 v[12:15], v[44:45], off glc slc
	s_mov_b64 s[74:75], -1
	s_mov_b64 s[72:73], 0
	s_waitcnt vmcnt(0)
.LBB8_308:                              ;   Parent Loop BB8_79 Depth=1
                                        ;     Parent Loop BB8_307 Depth=2
                                        ; =>    This Inner Loop Header: Depth=3
	s_cmp_eq_u32 s72, 0
	s_cselect_b64 s[38:39], -1, 0
	s_cmp_eq_u32 s72, 1
	s_cselect_b64 s[42:43], -1, 0
	v_cndmask_b32_e64 v11, 0, 1, s[74:75]
	v_cndmask_b32_e64 v26, v2, v10, s[42:43]
	v_cmp_ne_u32_e64 s[40:41], 1, v11
	v_cndmask_b32_e64 v27, v1, v3, s[42:43]
	v_add_co_u32_e32 v11, vcc, 0x400, v26
	v_addc_co_u32_e32 v24, vcc, 0, v27, vcc
	s_mov_b64 s[74:75], 0
	s_mov_b64 s[72:73], 1
	v_cndmask_b32_e64 v10, v10, v11, s[42:43]
	s_and_b64 vcc, exec, s[40:41]
	v_cndmask_b32_e64 v3, v3, v24, s[42:43]
	v_cndmask_b32_e64 v1, v1, v24, s[38:39]
	;; [unrolled: 1-line block ×3, first 2 shown]
	global_store_dwordx4 v[26:27], v[12:15], off glc slc
	s_cbranch_vccz .LBB8_308
; %bb.309:                              ;   in Loop: Header=BB8_307 Depth=2
	v_add_co_u32_e32 v2, vcc, v2, v48
	v_accvgpr_read_b32 v11, a19
	v_addc_co_u32_e32 v1, vcc, v1, v11, vcc
	v_add_co_u32_e32 v10, vcc, v10, v48
	v_addc_co_u32_e32 v3, vcc, v3, v11, vcc
	v_add_co_u32_e32 v44, vcc, v18, v44
	v_addc_co_u32_e32 v45, vcc, v19, v45, vcc
	v_sub_u32_e32 v43, v43, v31
	v_cmp_gt_i32_e32 vcc, 16, v43
	s_or_b64 s[70:71], vcc, s[70:71]
	v_sub_u32_e32 v58, v58, v30
	s_andn2_b64 exec, exec, s[70:71]
	s_cbranch_execnz .LBB8_307
; %bb.310:                              ;   in Loop: Header=BB8_79 Depth=1
	s_or_b64 exec, exec, s[70:71]
	v_accvgpr_read_b32 v45, a9
	v_accvgpr_read_b32 v52, a6
	;; [unrolled: 1-line block ×3, first 2 shown]
.LBB8_311:                              ;   in Loop: Header=BB8_79 Depth=1
	s_or_b64 exec, exec, s[68:69]
	v_and_b32_e32 v3, 15, v37
	v_cndmask_b32_e64 v10, v49, v3, s[36:37]
	v_cmp_ne_u32_e32 vcc, 0, v10
	s_mov_b64 s[38:39], 0
	v_mov_b32_e32 v1, 0
                                        ; implicit-def: $vgpr43
                                        ; implicit-def: $vgpr2
	s_and_saveexec_b64 s[40:41], vcc
	s_cbranch_execz .LBB8_313
; %bb.312:                              ;   in Loop: Header=BB8_79 Depth=1
	v_cmp_lt_i32_e32 vcc, 0, v58
	v_cndmask_b32_e32 v2, 0, v30, vcc
	v_sub_u32_e32 v2, v2, v58
	v_lshl_add_u32 v43, v2, 6, v40
	v_ashrrev_i32_e32 v2, 31, v43
	v_sub_u32_e32 v1, v49, v3
	v_lshrrev_b32_e32 v2, 26, v2
	v_cndmask_b32_e64 v1, 0, v1, s[36:37]
	v_add_u32_e32 v2, v43, v2
	s_mov_b64 s[38:39], exec
	v_add3_u32 v1, v41, v25, v1
	v_ashrrev_i32_e32 v2, 6, v2
.LBB8_313:                              ;   in Loop: Header=BB8_79 Depth=1
	s_or_b64 exec, exec, s[40:41]
	s_and_b64 s[36:37], s[38:39], exec
	v_mov_b32_e32 v58, 1
.LBB8_314:                              ;   in Loop: Header=BB8_79 Depth=1
	s_or_b64 exec, exec, s[66:67]
.LBB8_315:                              ;   in Loop: Header=BB8_79 Depth=1
	s_and_saveexec_b64 s[40:41], s[36:37]
	s_cbranch_execz .LBB8_326
; %bb.316:                              ;   in Loop: Header=BB8_79 Depth=1
	v_ashrrev_i32_e32 v3, 31, v10
	v_lshrrev_b32_e32 v3, 22, v3
	v_add_u32_e32 v3, v10, v3
	v_ashrrev_i32_e32 v41, 10, v3
	v_sub_u32_e32 v25, v41, v2
	v_cmp_lt_i32_e32 vcc, 0, v25
	v_ashrrev_i32_e32 v40, 31, v43
	s_and_saveexec_b64 s[36:37], vcc
	s_cbranch_execz .LBB8_320
; %bb.317:                              ;   in Loop: Header=BB8_79 Depth=1
	s_trap 2
	v_lshrrev_b32_e32 v3, 26, v40
	ds_read_b64 v[26:27], v0
	ds_read_b128 v[12:15], v0
	v_add_u32_e32 v3, v43, v3
	v_and_b32_e32 v3, 0xffffffc0, v3
	v_sub_u32_e32 v3, v43, v3
	v_lshlrev_b32_e32 v2, 10, v2
	v_add3_u32 v11, v1, v3, v2
	v_ashrrev_i32_e32 v24, 31, v11
	s_waitcnt lgkmcnt(0)
	v_add_co_u32_e32 v2, vcc, v12, v11
	v_addc_co_u32_e32 v3, vcc, v13, v24, vcc
	v_add_co_u32_e32 v12, vcc, v14, v11
	v_addc_co_u32_e32 v13, vcc, v15, v24, vcc
	;; [unrolled: 2-line block ×3, first 2 shown]
	v_add_co_u32_e32 v14, vcc, v14, v11
	v_accvgpr_write_b32 a10, v36
	v_addc_co_u32_e32 v15, vcc, v15, v24, vcc
	s_mov_b64 s[38:39], 0
.LBB8_318:                              ;   Parent Loop BB8_79 Depth=1
                                        ; =>  This Inner Loop Header: Depth=2
	v_add_co_u32_e32 v44, vcc, 0xfffffc40, v14
	v_addc_co_u32_e32 v45, vcc, -1, v15, vcc
	v_add_co_u32_e32 v26, vcc, 0xfffffc80, v14
	v_addc_co_u32_e32 v27, vcc, -1, v15, vcc
	;; [unrolled: 2-line block ×3, first 2 shown]
	flat_load_ubyte v44, v[44:45] glc slc
	v_sub_u32_e32 v25, v25, v30
	flat_load_ubyte v45, v[26:27] glc slc
	v_add_co_u32_e32 v26, vcc, 0xfffffd00, v14
	v_addc_co_u32_e32 v27, vcc, -1, v15, vcc
	flat_load_ubyte v58, v[50:51] glc slc
	v_add_co_u32_e32 v50, vcc, 0xfffffd40, v14
	v_addc_co_u32_e32 v51, vcc, -1, v15, vcc
	;; [unrolled: 3-line block ×4, first 2 shown]
	flat_load_ubyte v31, v[26:27] glc slc
	v_add_co_u32_e32 v26, vcc, 0xfffffe00, v14
	flat_load_ubyte v49, v[14:15] glc slc
	v_addc_co_u32_e32 v27, vcc, -1, v15, vcc
	flat_load_ubyte v36, v[50:51] glc slc
	v_add_co_u32_e32 v50, vcc, 0xfffffe40, v14
	v_addc_co_u32_e32 v51, vcc, -1, v15, vcc
	flat_load_ubyte v48, v[26:27] glc slc
	v_add_co_u32_e32 v26, vcc, 0xfffffe80, v14
	;; [unrolled: 3-line block ×7, first 2 shown]
	flat_load_ubyte v26, v[26:27] glc slc
	v_addc_co_u32_e32 v51, vcc, -1, v15, vcc
	flat_load_ubyte v27, v[50:51] glc slc
	v_cmp_gt_i32_e32 vcc, 1, v25
	s_or_b64 s[38:39], vcc, s[38:39]
	v_add_co_u32_e32 v14, vcc, v14, v18
	v_addc_co_u32_e32 v15, vcc, v15, v19, vcc
	s_waitcnt vmcnt(0) lgkmcnt(0)
	flat_store_byte v[2:3], v49 offset:960 glc slc
	flat_store_byte v[2:3], v44 glc slc
	flat_store_byte v[2:3], v45 offset:64 glc slc
	flat_store_byte v[2:3], v58 offset:128 glc slc
	;; [unrolled: 1-line block ×14, first 2 shown]
	flat_store_byte v[12:13], v44 glc slc
	flat_store_byte v[12:13], v45 offset:64 glc slc
	flat_store_byte v[12:13], v58 offset:128 glc slc
	;; [unrolled: 1-line block ×15, first 2 shown]
	v_add_co_u32_e32 v2, vcc, v2, v18
	v_addc_co_u32_e32 v3, vcc, v3, v19, vcc
	v_add_co_u32_e32 v12, vcc, v12, v18
	v_addc_co_u32_e32 v13, vcc, v13, v19, vcc
	s_andn2_b64 exec, exec, s[38:39]
	s_cbranch_execnz .LBB8_318
; %bb.319:                              ;   in Loop: Header=BB8_79 Depth=1
	s_or_b64 exec, exec, s[38:39]
	v_accvgpr_read_b32 v45, a9
	v_accvgpr_read_b32 v55, a17
	;; [unrolled: 1-line block ×5, first 2 shown]
	v_mov_b32_e32 v58, 1
	v_accvgpr_read_b32 v31, a11
	v_accvgpr_read_b32 v56, a12
	;; [unrolled: 1-line block ×6, first 2 shown]
.LBB8_320:                              ;   in Loop: Header=BB8_79 Depth=1
	s_or_b64 exec, exec, s[36:37]
	v_lshlrev_b32_e32 v2, 10, v41
	v_cmp_ne_u32_e32 vcc, v10, v2
	s_and_b64 exec, exec, vcc
	s_cbranch_execz .LBB8_326
; %bb.321:                              ;   in Loop: Header=BB8_79 Depth=1
	v_lshrrev_b32_e32 v3, 26, v40
	v_add_u32_e32 v3, v43, v3
	v_and_b32_e32 v3, 0xffffffc0, v3
	v_sub_u32_e32 v3, v43, v3
	v_lshlrev_b32_e32 v11, 6, v25
	v_sub_u32_e32 v3, v3, v11
	v_add_u32_e32 v2, v2, v3
	v_sub_u32_e32 v14, v10, v2
	v_cmp_lt_i32_e32 vcc, 0, v14
	s_and_b64 exec, exec, vcc
	s_cbranch_execz .LBB8_326
; %bb.322:                              ;   in Loop: Header=BB8_79 Depth=1
	s_trap 2
	ds_read_b64 v[12:13], v0
	ds_read_b128 v[24:27], v0
	v_add_u32_e32 v3, v2, v1
	v_ashrrev_i32_e32 v11, 31, v3
	s_mov_b64 s[42:43], 0
	s_waitcnt lgkmcnt(0)
	v_add_co_u32_e32 v12, vcc, v12, v3
	v_addc_co_u32_e32 v13, vcc, v13, v11, vcc
	v_add_co_u32_e32 v2, vcc, v24, v3
	v_addc_co_u32_e32 v1, vcc, v25, v11, vcc
	;; [unrolled: 2-line block ×3, first 2 shown]
.LBB8_323:                              ;   Parent Loop BB8_79 Depth=1
                                        ; =>  This Loop Header: Depth=2
                                        ;       Child Loop BB8_324 Depth 3
	flat_load_ubyte v15, v[12:13] glc slc
	s_mov_b64 s[66:67], -1
	s_mov_b64 s[68:69], 0
	s_waitcnt vmcnt(0)
.LBB8_324:                              ;   Parent Loop BB8_79 Depth=1
                                        ;     Parent Loop BB8_323 Depth=2
                                        ; =>    This Inner Loop Header: Depth=3
	s_cmp_eq_u32 s68, 1
	s_cselect_b64 vcc, -1, 0
	v_cndmask_b32_e32 v24, v2, v10, vcc
	v_cndmask_b32_e32 v25, v1, v3, vcc
	v_add_co_u32_e64 v11, s[36:37], 64, v24
	s_cmp_eq_u32 s68, 0
	s_waitcnt lgkmcnt(0)
	flat_store_byte v[24:25], v15 glc slc
	v_addc_co_u32_e64 v24, s[36:37], 0, v25, s[36:37]
	s_cselect_b64 s[36:37], -1, 0
	s_and_b64 s[38:39], exec, s[66:67]
	s_mov_b64 s[68:69], 1
	s_mov_b64 s[66:67], 0
	v_cndmask_b32_e32 v3, v3, v24, vcc
	v_cndmask_b32_e32 v10, v10, v11, vcc
	v_cndmask_b32_e64 v1, v1, v24, s[36:37]
	v_cndmask_b32_e64 v2, v2, v11, s[36:37]
	s_mov_b64 vcc, s[38:39]
	s_cbranch_vccnz .LBB8_324
; %bb.325:                              ;   in Loop: Header=BB8_323 Depth=2
	v_add_co_u32_e32 v2, vcc, v2, v56
	v_addc_co_u32_e32 v1, vcc, v1, v51, vcc
	v_add_co_u32_e32 v10, vcc, v10, v56
	v_addc_co_u32_e32 v3, vcc, v3, v51, vcc
	v_sub_u32_e32 v14, v14, v47
	v_cmp_gt_i32_e32 vcc, 1, v14
	s_or_b64 s[42:43], vcc, s[42:43]
	v_add_co_u32_e32 v12, vcc, v61, v12
	v_addc_co_u32_e32 v13, vcc, v62, v13, vcc
	s_andn2_b64 exec, exec, s[42:43]
	s_cbranch_execnz .LBB8_323
.LBB8_326:                              ;   in Loop: Header=BB8_79 Depth=1
	s_or_b64 exec, exec, s[40:41]
	s_branch .LBB8_362
.LBB8_327:                              ;   in Loop: Header=BB8_79 Depth=1
	s_and_saveexec_b64 s[38:39], s[14:15]
	s_cbranch_execnz .LBB8_363
.LBB8_328:                              ;   in Loop: Header=BB8_79 Depth=1
	s_or_b64 exec, exec, s[38:39]
                                        ; implicit-def: $vgpr1
	s_and_saveexec_b64 vcc, s[28:29]
	s_xor_b64 s[38:39], exec, vcc
	s_cbranch_execz .LBB8_400
.LBB8_329:                              ;   in Loop: Header=BB8_79 Depth=1
	v_and_b32_e32 v2, 16, v46
	v_cmp_ne_u32_e32 vcc, 0, v2
	v_and_b32_e32 v1, 16, v46
	s_and_b64 s[36:37], vcc, s[36:37]
	s_and_saveexec_b64 vcc, s[36:37]
	s_cbranch_execz .LBB8_331
; %bb.330:                              ;   in Loop: Header=BB8_79 Depth=1
	v_mov_b32_e32 v1, 1
	s_waitcnt vmcnt(0) lgkmcnt(0)
	buffer_wbinvl1_vol
.LBB8_331:                              ;   in Loop: Header=BB8_79 Depth=1
	s_or_b64 exec, exec, vcc
	s_andn2_saveexec_b64 s[36:37], s[38:39]
	s_cbranch_execnz .LBB8_401
.LBB8_332:                              ;   in Loop: Header=BB8_79 Depth=1
	s_or_b64 exec, exec, s[36:37]
	v_cmp_ne_u32_e32 vcc, 0, v1
	s_and_saveexec_b64 s[36:37], vcc
	s_cbranch_execnz .LBB8_474
	s_branch .LBB8_477
.LBB8_333:                              ;   in Loop: Header=BB8_79 Depth=1
	s_cbranch_execz .LBB8_362
; %bb.334:                              ;   in Loop: Header=BB8_79 Depth=1
	s_mov_b64 s[36:37], -1
	s_and_saveexec_b64 s[38:39], s[26:27]
	s_cbranch_execz .LBB8_336
; %bb.335:                              ;   in Loop: Header=BB8_79 Depth=1
	ds_read_b32 v1, v0 offset:720
	s_waitcnt lgkmcnt(0)
	v_and_b32_e32 v1, 15, v1
	v_cmp_eq_u32_e32 vcc, 0, v1
	s_orn2_b64 s[36:37], vcc, exec
.LBB8_336:                              ;   in Loop: Header=BB8_79 Depth=1
	s_or_b64 exec, exec, s[38:39]
	s_and_saveexec_b64 s[38:39], s[26:27]
	s_cbranch_execz .LBB8_338
; %bb.337:                              ;   in Loop: Header=BB8_79 Depth=1
	ds_read_b32 v1, v0 offset:784
	s_waitcnt lgkmcnt(0)
	v_and_b32_e32 v1, 15, v1
	v_cmp_eq_u32_e32 vcc, 0, v1
	s_and_b64 vcc, s[36:37], vcc
	s_andn2_b64 s[36:37], s[36:37], exec
	s_and_b64 vcc, vcc, exec
	s_or_b64 s[36:37], s[36:37], vcc
.LBB8_338:                              ;   in Loop: Header=BB8_79 Depth=1
	s_or_b64 exec, exec, s[38:39]
	s_xor_b64 vcc, s[36:37], -1
	v_cndmask_b32_e64 v1, 0, 1, vcc
	;;#ASMSTART
	;;#ASMEND
	s_mov_b64 s[40:41], -1
	v_cmp_ne_u32_e32 vcc, 0, v1
	v_mov_b32_e32 v14, 0
	v_mov_b32_e32 v15, v37
	;; [unrolled: 1-line block ×4, first 2 shown]
	s_cbranch_vccnz .LBB8_352
; %bb.339:                              ;   in Loop: Header=BB8_79 Depth=1
	v_ashrrev_i32_e32 v1, 31, v37
	v_lshrrev_b32_e32 v1, 21, v1
	v_add_u32_e32 v1, v37, v1
	v_ashrrev_i32_e32 v1, 11, v1
	v_sub_u32_e32 v10, v1, v57
	v_cmp_lt_i32_e32 vcc, 0, v10
	s_and_saveexec_b64 s[36:37], vcc
	s_cbranch_execz .LBB8_343
; %bb.340:                              ;   in Loop: Header=BB8_79 Depth=1
	s_trap 2
	ds_read_b64 v[2:3], v0
	v_accvgpr_read_b32 v12, a20
	s_mov_b64 s[38:39], 0
	v_accvgpr_read_b32 v13, a21
.LBB8_341:                              ;   Parent Loop BB8_79 Depth=1
                                        ; =>  This Inner Loop Header: Depth=2
	s_waitcnt lgkmcnt(0)
	v_add_co_u32_e32 v14, vcc, v2, v12
	v_addc_co_u32_e32 v15, vcc, v3, v13, vcc
	global_load_dwordx4 v[48:51], v[14:15], off glc slc
	global_load_dwordx4 v[54:57], v[14:15], off offset:1024 glc slc
	v_add_co_u32_e32 v12, vcc, v12, v59
	v_sub_u32_e32 v10, v10, v30
	v_addc_co_u32_e32 v13, vcc, v13, v60, vcc
	v_cmp_gt_i32_e32 vcc, 1, v10
	s_or_b64 s[38:39], vcc, s[38:39]
	s_waitcnt vmcnt(0)
	global_store_dwordx4 v[14:15], v[48:51], off glc slc
	global_store_dwordx4 v[14:15], v[54:57], off offset:1024 glc slc
	s_andn2_b64 exec, exec, s[38:39]
	s_cbranch_execnz .LBB8_341
; %bb.342:                              ;   in Loop: Header=BB8_79 Depth=1
	s_or_b64 exec, exec, s[38:39]
	v_accvgpr_read_b32 v55, a17
	v_accvgpr_read_b32 v56, a12
	v_accvgpr_read_b32 v48, a14
	v_accvgpr_read_b32 v51, a13
	v_accvgpr_read_b32 v54, a16
	v_accvgpr_read_b32 v57, a15
.LBB8_343:                              ;   in Loop: Header=BB8_79 Depth=1
	s_or_b64 exec, exec, s[36:37]
	v_lshlrev_b32_e32 v12, 11, v1
	v_cmp_ne_u32_e32 vcc, v37, v12
	s_mov_b64 s[40:41], 0
	v_mov_b32_e32 v14, 0
                                        ; implicit-def: $vgpr15
                                        ; implicit-def: $vgpr25
                                        ; implicit-def: $vgpr1
	s_and_saveexec_b64 s[38:39], vcc
	s_cbranch_execz .LBB8_351
; %bb.344:                              ;   in Loop: Header=BB8_79 Depth=1
	v_lshlrev_b32_e32 v1, 6, v10
	v_accvgpr_read_b32 v3, a18
	v_sub_u32_e32 v1, v3, v1
	v_ashrrev_i32_e32 v3, 31, v1
	v_lshrrev_b32_e32 v3, 26, v3
	v_add_u32_e32 v3, v1, v3
	v_sub_u32_e32 v2, v37, v12
	v_ashrrev_i32_e32 v10, 6, v3
	v_and_b32_e32 v3, 0xffffffc0, v3
	v_sub_u32_e32 v13, v1, v3
	v_ashrrev_i32_e32 v3, 31, v2
	v_lshrrev_b32_e32 v3, 22, v3
	v_add_u32_e32 v3, v2, v3
	v_and_b32_e32 v49, 0xfffffc00, v3
	v_lshlrev_b32_e32 v1, 4, v13
	v_sub_u32_e32 v41, v2, v49
	v_lshl_add_u32 v1, v10, 10, v1
	v_ashrrev_i32_e32 v11, 10, v3
	v_cmp_lt_i32_e32 vcc, 15, v41
	v_sub_u32_e32 v14, v2, v1
	v_addc_co_u32_e64 v2, s[36:37], 0, v11, vcc
	v_sub_u32_e32 v40, v2, v10
	v_cmp_lt_i32_e64 s[36:37], 15, v14
	s_and_saveexec_b64 s[40:41], s[36:37]
	s_cbranch_execz .LBB8_348
; %bb.345:                              ;   in Loop: Header=BB8_79 Depth=1
	s_trap 2
	ds_read_b64 v[2:3], v0
	v_add_u32_e32 v10, v1, v12
	v_ashrrev_i32_e32 v1, 31, v10
	s_mov_b64 s[42:43], 0
.LBB8_346:                              ;   Parent Loop BB8_79 Depth=1
                                        ; =>  This Inner Loop Header: Depth=2
	s_waitcnt lgkmcnt(0)
	v_add_co_u32_e64 v24, s[36:37], v2, v10
	v_addc_co_u32_e64 v25, s[36:37], v3, v1, s[36:37]
	global_load_dwordx4 v[54:57], v[24:25], off glc slc
	v_add_co_u32_e64 v10, s[36:37], v10, v18
	v_sub_u32_e32 v14, v14, v31
	v_addc_co_u32_e64 v1, s[36:37], v1, v19, s[36:37]
	v_cmp_gt_i32_e64 s[36:37], 16, v14
	v_sub_u32_e32 v40, v40, v30
	s_or_b64 s[42:43], s[36:37], s[42:43]
	s_waitcnt vmcnt(0)
	global_store_dwordx4 v[24:25], v[54:57], off glc slc
	s_andn2_b64 exec, exec, s[42:43]
	s_cbranch_execnz .LBB8_346
; %bb.347:                              ;   in Loop: Header=BB8_79 Depth=1
	s_or_b64 exec, exec, s[42:43]
	v_accvgpr_read_b32 v55, a17
	v_accvgpr_read_b32 v56, a12
	;; [unrolled: 1-line block ×4, first 2 shown]
.LBB8_348:                              ;   in Loop: Header=BB8_79 Depth=1
	s_or_b64 exec, exec, s[40:41]
	v_and_b32_e32 v2, 15, v37
	v_cndmask_b32_e32 v15, v41, v2, vcc
	v_cmp_ne_u32_e64 s[36:37], 0, v15
	s_mov_b64 s[40:41], 0
	v_mov_b32_e32 v14, 0
                                        ; implicit-def: $vgpr25
                                        ; implicit-def: $vgpr1
	s_and_saveexec_b64 s[42:43], s[36:37]
	s_cbranch_execz .LBB8_350
; %bb.349:                              ;   in Loop: Header=BB8_79 Depth=1
	v_sub_u32_e32 v1, v41, v2
	v_cndmask_b32_e32 v1, 0, v1, vcc
	v_cmp_lt_i32_e32 vcc, 0, v40
	v_add3_u32 v14, v49, v12, v1
	v_cndmask_b32_e32 v1, 0, v30, vcc
	v_sub_u32_e32 v1, v1, v40
	v_lshl_add_u32 v25, v1, 6, v13
	v_ashrrev_i32_e32 v1, 31, v25
	v_lshrrev_b32_e32 v1, 26, v1
	v_add_u32_e32 v1, v25, v1
	s_mov_b64 s[40:41], exec
	v_ashrrev_i32_e32 v1, 6, v1
.LBB8_350:                              ;   in Loop: Header=BB8_79 Depth=1
	s_or_b64 exec, exec, s[42:43]
	s_and_b64 s[40:41], s[40:41], exec
.LBB8_351:                              ;   in Loop: Header=BB8_79 Depth=1
	s_or_b64 exec, exec, s[38:39]
.LBB8_352:                              ;   in Loop: Header=BB8_79 Depth=1
	s_and_saveexec_b64 s[36:37], s[40:41]
	s_cbranch_execz .LBB8_361
; %bb.353:                              ;   in Loop: Header=BB8_79 Depth=1
	v_ashrrev_i32_e32 v2, 31, v15
	v_lshrrev_b32_e32 v2, 22, v2
	v_add_u32_e32 v2, v15, v2
	v_ashrrev_i32_e32 v40, 10, v2
	v_sub_u32_e32 v49, v40, v1
	v_cmp_lt_i32_e32 vcc, 0, v49
	s_and_saveexec_b64 s[38:39], vcc
	s_cbranch_execz .LBB8_357
; %bb.354:                              ;   in Loop: Header=BB8_79 Depth=1
	v_ashrrev_i32_e32 v10, 31, v25
	s_trap 2
	ds_read_b64 v[2:3], v0
	v_lshrrev_b32_e32 v10, 26, v10
	v_add_u32_e32 v10, v25, v10
	v_and_b32_e32 v10, 0xffffffc0, v10
	v_sub_u32_e32 v10, v25, v10
	v_lshlrev_b32_e32 v1, 10, v1
	v_add3_u32 v10, v14, v10, v1
	v_accvgpr_write_b32 a10, v36
	v_ashrrev_i32_e32 v1, 31, v10
	s_mov_b64 s[40:41], 0
	s_waitcnt lgkmcnt(0)
	v_pk_mov_b32 v[12:13], v[2:3], v[2:3] op_sel:[0,1]
.LBB8_355:                              ;   Parent Loop BB8_79 Depth=1
                                        ; =>  This Inner Loop Header: Depth=2
	v_add_co_u32_e32 v26, vcc, v10, v12
	v_addc_co_u32_e32 v27, vcc, v1, v13, vcc
	flat_load_ubyte v11, v[26:27] glc slc
	flat_load_ubyte v24, v[26:27] offset:64 glc slc
	flat_load_ubyte v31, v[26:27] offset:128 glc slc
	;; [unrolled: 1-line block ×15, first 2 shown]
	v_add_co_u32_e32 v26, vcc, v10, v2
	v_addc_co_u32_e32 v27, vcc, v1, v3, vcc
	v_add_co_u32_e32 v12, vcc, v12, v18
	v_addc_co_u32_e32 v13, vcc, v13, v19, vcc
	v_add_co_u32_e32 v2, vcc, v2, v18
	v_sub_u32_e32 v49, v49, v30
	v_addc_co_u32_e32 v3, vcc, v3, v19, vcc
	v_cmp_gt_i32_e32 vcc, 1, v49
	s_or_b64 s[40:41], vcc, s[40:41]
	s_waitcnt vmcnt(0) lgkmcnt(0)
	flat_store_byte v[26:27], v11 glc slc
	flat_store_byte v[26:27], v24 offset:64 glc slc
	flat_store_byte v[26:27], v31 offset:128 glc slc
	;; [unrolled: 1-line block ×15, first 2 shown]
	s_andn2_b64 exec, exec, s[40:41]
	s_cbranch_execnz .LBB8_355
; %bb.356:                              ;   in Loop: Header=BB8_79 Depth=1
	s_or_b64 exec, exec, s[40:41]
	v_accvgpr_read_b32 v45, a9
	v_accvgpr_read_b32 v55, a17
	;; [unrolled: 1-line block ×11, first 2 shown]
.LBB8_357:                              ;   in Loop: Header=BB8_79 Depth=1
	s_or_b64 exec, exec, s[38:39]
	v_lshlrev_b32_e32 v1, 10, v40
	v_cmp_ne_u32_e32 vcc, v15, v1
	s_and_b64 exec, exec, vcc
	s_cbranch_execz .LBB8_361
; %bb.358:                              ;   in Loop: Header=BB8_79 Depth=1
	v_ashrrev_i32_e32 v2, 31, v25
	v_lshrrev_b32_e32 v2, 26, v2
	v_add_u32_e32 v2, v25, v2
	v_and_b32_e32 v2, 0xffffffc0, v2
	v_sub_u32_e32 v2, v25, v2
	v_lshlrev_b32_e32 v3, 6, v49
	v_sub_u32_e32 v2, v2, v3
	v_add_u32_e32 v1, v1, v2
	v_sub_u32_e32 v12, v15, v1
	v_cmp_lt_i32_e32 vcc, 0, v12
	s_and_b64 exec, exec, vcc
	s_cbranch_execz .LBB8_361
; %bb.359:                              ;   in Loop: Header=BB8_79 Depth=1
	s_trap 2
	ds_read_b64 v[2:3], v0
	v_add_u32_e32 v10, v1, v14
	v_ashrrev_i32_e32 v1, 31, v10
	s_mov_b64 s[38:39], 0
.LBB8_360:                              ;   Parent Loop BB8_79 Depth=1
                                        ; =>  This Inner Loop Header: Depth=2
	s_waitcnt lgkmcnt(0)
	v_add_co_u32_e32 v14, vcc, v2, v10
	v_addc_co_u32_e32 v15, vcc, v3, v1, vcc
	flat_load_ubyte v11, v[14:15] glc slc
	v_add_co_u32_e32 v10, vcc, v10, v61
	v_sub_u32_e32 v12, v12, v47
	v_addc_co_u32_e32 v1, vcc, v1, v62, vcc
	v_cmp_gt_i32_e32 vcc, 1, v12
	s_or_b64 s[38:39], vcc, s[38:39]
	s_waitcnt vmcnt(0) lgkmcnt(0)
	flat_store_byte v[14:15], v11 glc slc
	s_andn2_b64 exec, exec, s[38:39]
	s_cbranch_execnz .LBB8_360
.LBB8_361:                              ;   in Loop: Header=BB8_79 Depth=1
	s_or_b64 exec, exec, s[36:37]
.LBB8_362:                              ;   in Loop: Header=BB8_79 Depth=1
	v_cmp_lt_i32_e64 s[36:37], 0, v37
	s_and_saveexec_b64 s[38:39], s[14:15]
	s_cbranch_execz .LBB8_328
.LBB8_363:                              ;   in Loop: Header=BB8_79 Depth=1
	s_and_saveexec_b64 vcc, s[52:53]
	s_xor_b64 s[40:41], exec, vcc
	s_cbranch_execz .LBB8_397
; %bb.364:                              ;   in Loop: Header=BB8_79 Depth=1
	s_and_saveexec_b64 s[42:43], s[20:21]
	s_cbranch_execz .LBB8_396
; %bb.365:                              ;   in Loop: Header=BB8_79 Depth=1
	s_mov_b64 s[68:69], exec
	v_mbcnt_lo_u32_b32 v1, s68, 0
	v_mbcnt_hi_u32_b32 v1, s69, v1
	v_cmp_eq_u32_e32 vcc, 0, v1
	s_waitcnt vmcnt(0) lgkmcnt(0)
	buffer_wbinvl1_vol
	s_and_saveexec_b64 s[66:67], vcc
	s_cbranch_execz .LBB8_367
; %bb.366:                              ;   in Loop: Header=BB8_79 Depth=1
	s_bcnt1_i32_b64 vcc_lo, s[68:69]
	v_mov_b32_e32 v2, vcc_lo
	v_mov_b32_e32 v3, v36
	ds_add_u64 v0, v[2:3]
	s_trap 2
.LBB8_367:                              ;   in Loop: Header=BB8_79 Depth=1
	s_or_b64 exec, exec, s[66:67]
	s_trap 2
	ds_read_b64 v[2:3], v0
	v_add_co_u32_e32 v28, vcc, v28, v30
	v_addc_co_u32_e32 v29, vcc, 0, v29, vcc
	s_waitcnt lgkmcnt(0)
	v_cmp_lt_u64_e32 vcc, v[2:3], v[28:29]
	s_and_saveexec_b64 s[66:67], vcc
	s_cbranch_execz .LBB8_395
; %bb.368:                              ;   in Loop: Header=BB8_79 Depth=1
	s_mov_b32 s78, 0
	s_mov_b64 s[68:69], 0
                                        ; implicit-def: $sgpr70_sgpr71
                                        ; implicit-def: $sgpr72_sgpr73
	s_branch .LBB8_370
.LBB8_369:                              ;   in Loop: Header=BB8_370 Depth=2
	s_or_b64 exec, exec, s[76:77]
	s_and_b64 vcc, exec, vcc
	s_or_b64 s[68:69], vcc, s[68:69]
	s_andn2_b64 vcc, s[70:71], exec
	s_and_b64 s[70:71], s[72:73], exec
	s_or_b64 s[70:71], vcc, s[70:71]
	s_andn2_b64 exec, exec, s[68:69]
	s_cbranch_execz .LBB8_393
.LBB8_370:                              ;   Parent Loop BB8_79 Depth=1
                                        ; =>  This Inner Loop Header: Depth=2
	s_add_i32 s78, s78, 1
	s_cmpk_lg_i32 s78, 0x2710
	s_cselect_b64 s[74:75], -1, 0
	s_and_b64 vcc, exec, s[74:75]
                                        ; implicit-def: $sgpr76_sgpr77
	s_cbranch_vccnz .LBB8_372
; %bb.371:                              ;   in Loop: Header=BB8_370 Depth=2
	s_trap 2
	ds_read_b64 v[2:3], v0
	s_andn2_b64 s[74:75], s[74:75], exec
	s_mov_b32 s78, 0
	s_mov_b64 s[76:77], -1
	s_waitcnt lgkmcnt(0)
	flat_load_dword v1, v[2:3] glc
	s_waitcnt vmcnt(0) lgkmcnt(0)
	buffer_invl2
	buffer_wbinvl1_vol
	v_cmp_eq_u32_e32 vcc, 0, v1
	s_and_b64 vcc, vcc, exec
	s_or_b64 s[74:75], s[74:75], vcc
.LBB8_372:                              ;   in Loop: Header=BB8_370 Depth=2
	s_andn2_b64 s[72:73], s[72:73], exec
	s_and_b64 s[76:77], s[76:77], exec
	s_mov_b64 vcc, -1
	s_or_b64 s[72:73], s[72:73], s[76:77]
	s_and_saveexec_b64 s[76:77], s[74:75]
	s_cbranch_execz .LBB8_369
; %bb.373:                              ;   in Loop: Header=BB8_370 Depth=2
	s_sleep 1
	s_trap 2
	ds_read_b64 v[2:3], v0
	s_andn2_b64 s[72:73], s[72:73], exec
	s_waitcnt lgkmcnt(0)
	v_cmp_ge_u64_e32 vcc, v[2:3], v[28:29]
	s_orn2_b64 vcc, vcc, exec
	s_branch .LBB8_369
.LBB8_374:                              ;   in Loop: Header=BB8_79 Depth=1
	s_or_b64 exec, exec, s[66:67]
	s_and_saveexec_b64 vcc, s[68:69]
	s_xor_b64 vcc, exec, vcc
	s_cbranch_execz .LBB8_376
; %bb.375:                              ;   in Loop: Header=BB8_79 Depth=1
	ds_write_b32 v0, v58
	s_trap 2
.LBB8_376:                              ;   in Loop: Header=BB8_79 Depth=1
	s_or_b64 exec, exec, s[64:65]
	;;#ASMSTART
	s_wakeup
	;;#ASMEND
.LBB8_377:                              ;   in Loop: Header=BB8_79 Depth=1
	s_or_b64 exec, exec, s[42:43]
.LBB8_378:                              ;   in Loop: Header=BB8_79 Depth=1
	s_andn2_saveexec_b64 vcc, s[40:41]
	s_cbranch_execz .LBB8_380
; %bb.379:                              ;   in Loop: Header=BB8_79 Depth=1
	s_waitcnt vmcnt(0) lgkmcnt(0)
	buffer_wbinvl1_vol
	s_barrier
.LBB8_380:                              ;   in Loop: Header=BB8_79 Depth=1
	s_or_b64 exec, exec, vcc
	s_or_b64 exec, exec, s[38:39]
                                        ; implicit-def: $vgpr1
	s_and_saveexec_b64 vcc, s[28:29]
	s_xor_b64 s[38:39], exec, vcc
	s_cbranch_execnz .LBB8_242
.LBB8_381:                              ;   in Loop: Header=BB8_79 Depth=1
	s_andn2_saveexec_b64 s[36:37], s[38:39]
	s_cbranch_execz .LBB8_419
.LBB8_382:                              ;   in Loop: Header=BB8_79 Depth=1
	s_and_saveexec_b64 vcc, s[52:53]
	s_xor_b64 s[38:39], exec, vcc
	s_cbranch_execz .LBB8_416
; %bb.383:                              ;   in Loop: Header=BB8_79 Depth=1
	s_and_saveexec_b64 s[40:41], s[20:21]
	s_cbranch_execz .LBB8_415
; %bb.384:                              ;   in Loop: Header=BB8_79 Depth=1
	s_mov_b64 s[64:65], exec
	v_mbcnt_lo_u32_b32 v1, s64, 0
	v_mbcnt_hi_u32_b32 v1, s65, v1
	v_cmp_eq_u32_e32 vcc, 0, v1
	;;#ASMSTART
	s_waitcnt lgkmcnt(0) vmcnt(0)
	;;#ASMEND
	s_and_saveexec_b64 s[42:43], vcc
	s_cbranch_execz .LBB8_386
; %bb.385:                              ;   in Loop: Header=BB8_79 Depth=1
	s_bcnt1_i32_b64 vcc_lo, s[64:65]
	v_mov_b32_e32 v2, vcc_lo
	v_mov_b32_e32 v3, v36
	ds_add_u64 v0, v[2:3]
	s_trap 2
.LBB8_386:                              ;   in Loop: Header=BB8_79 Depth=1
	s_or_b64 exec, exec, s[42:43]
	s_trap 2
	ds_read_b64 v[2:3], v0
	v_add_co_u32_e32 v28, vcc, v28, v30
	v_addc_co_u32_e32 v29, vcc, 0, v29, vcc
	s_waitcnt lgkmcnt(0)
	v_cmp_lt_u64_e32 vcc, v[2:3], v[28:29]
	s_and_saveexec_b64 s[42:43], vcc
	s_cbranch_execz .LBB8_414
; %bb.387:                              ;   in Loop: Header=BB8_79 Depth=1
	s_mov_b32 s74, 0
	s_mov_b64 s[64:65], 0
                                        ; implicit-def: $sgpr66_sgpr67
                                        ; implicit-def: $sgpr68_sgpr69
	s_branch .LBB8_389
.LBB8_388:                              ;   in Loop: Header=BB8_389 Depth=2
	s_or_b64 exec, exec, s[72:73]
	s_and_b64 vcc, exec, vcc
	s_or_b64 s[64:65], vcc, s[64:65]
	s_andn2_b64 vcc, s[66:67], exec
	s_and_b64 s[66:67], s[68:69], exec
	s_or_b64 s[66:67], vcc, s[66:67]
	s_andn2_b64 exec, exec, s[64:65]
	s_cbranch_execz .LBB8_412
.LBB8_389:                              ;   Parent Loop BB8_79 Depth=1
                                        ; =>  This Inner Loop Header: Depth=2
	s_add_i32 s74, s74, 1
	s_cmpk_lg_i32 s74, 0x2710
	s_cselect_b64 s[70:71], -1, 0
	s_and_b64 vcc, exec, s[70:71]
                                        ; implicit-def: $sgpr72_sgpr73
	s_cbranch_vccnz .LBB8_391
; %bb.390:                              ;   in Loop: Header=BB8_389 Depth=2
	s_trap 2
	ds_read_b64 v[2:3], v0
	s_andn2_b64 s[70:71], s[70:71], exec
	s_mov_b32 s74, 0
	s_mov_b64 s[72:73], -1
	s_waitcnt vmcnt(0) lgkmcnt(0)
	flat_load_dword v1, v[2:3] glc
	s_waitcnt vmcnt(0) lgkmcnt(0)
	buffer_invl2
	buffer_wbinvl1_vol
	v_cmp_eq_u32_e32 vcc, 0, v1
	s_and_b64 vcc, vcc, exec
	s_or_b64 s[70:71], s[70:71], vcc
.LBB8_391:                              ;   in Loop: Header=BB8_389 Depth=2
	s_andn2_b64 s[68:69], s[68:69], exec
	s_and_b64 s[72:73], s[72:73], exec
	s_mov_b64 vcc, -1
	s_or_b64 s[68:69], s[68:69], s[72:73]
	s_and_saveexec_b64 s[72:73], s[70:71]
	s_cbranch_execz .LBB8_388
; %bb.392:                              ;   in Loop: Header=BB8_389 Depth=2
	s_sleep 1
	s_trap 2
	ds_read_b64 v[2:3], v0
	s_andn2_b64 s[68:69], s[68:69], exec
	s_waitcnt lgkmcnt(0)
	v_cmp_ge_u64_e32 vcc, v[2:3], v[28:29]
	s_orn2_b64 vcc, vcc, exec
	s_branch .LBB8_388
.LBB8_393:                              ;   in Loop: Header=BB8_79 Depth=1
	s_or_b64 exec, exec, s[68:69]
	s_and_saveexec_b64 vcc, s[70:71]
	s_xor_b64 vcc, exec, vcc
	s_cbranch_execz .LBB8_395
; %bb.394:                              ;   in Loop: Header=BB8_79 Depth=1
	ds_write_b32 v0, v58
	s_trap 2
.LBB8_395:                              ;   in Loop: Header=BB8_79 Depth=1
	s_or_b64 exec, exec, s[66:67]
	;;#ASMSTART
	s_wakeup
	;;#ASMEND
.LBB8_396:                              ;   in Loop: Header=BB8_79 Depth=1
	s_or_b64 exec, exec, s[42:43]
.LBB8_397:                              ;   in Loop: Header=BB8_79 Depth=1
	s_andn2_saveexec_b64 vcc, s[40:41]
	s_cbranch_execz .LBB8_399
; %bb.398:                              ;   in Loop: Header=BB8_79 Depth=1
	s_waitcnt vmcnt(0) lgkmcnt(0)
	buffer_wbinvl1_vol
	s_barrier
.LBB8_399:                              ;   in Loop: Header=BB8_79 Depth=1
	s_or_b64 exec, exec, vcc
	s_or_b64 exec, exec, s[38:39]
                                        ; implicit-def: $vgpr1
	s_and_saveexec_b64 vcc, s[28:29]
	s_xor_b64 s[38:39], exec, vcc
	s_cbranch_execnz .LBB8_329
.LBB8_400:                              ;   in Loop: Header=BB8_79 Depth=1
	s_andn2_saveexec_b64 s[36:37], s[38:39]
	s_cbranch_execz .LBB8_332
.LBB8_401:                              ;   in Loop: Header=BB8_79 Depth=1
	s_and_saveexec_b64 vcc, s[52:53]
	s_xor_b64 s[38:39], exec, vcc
	s_cbranch_execz .LBB8_471
; %bb.402:                              ;   in Loop: Header=BB8_79 Depth=1
	s_and_saveexec_b64 s[40:41], s[20:21]
	s_cbranch_execz .LBB8_470
; %bb.403:                              ;   in Loop: Header=BB8_79 Depth=1
	s_mov_b64 s[66:67], exec
	v_mbcnt_lo_u32_b32 v1, s66, 0
	v_mbcnt_hi_u32_b32 v1, s67, v1
	v_cmp_eq_u32_e32 vcc, 0, v1
	;;#ASMSTART
	s_waitcnt lgkmcnt(0) vmcnt(0)
	;;#ASMEND
	s_and_saveexec_b64 s[42:43], vcc
	s_cbranch_execz .LBB8_405
; %bb.404:                              ;   in Loop: Header=BB8_79 Depth=1
	s_bcnt1_i32_b64 vcc_lo, s[66:67]
	v_mov_b32_e32 v2, vcc_lo
	v_mov_b32_e32 v3, v36
	ds_add_u64 v0, v[2:3]
	s_trap 2
.LBB8_405:                              ;   in Loop: Header=BB8_79 Depth=1
	s_or_b64 exec, exec, s[42:43]
	s_trap 2
	ds_read_b64 v[2:3], v0
	v_add_co_u32_e32 v28, vcc, v28, v30
	v_addc_co_u32_e32 v29, vcc, 0, v29, vcc
	s_waitcnt lgkmcnt(0)
	v_cmp_lt_u64_e32 vcc, v[2:3], v[28:29]
	s_and_saveexec_b64 s[42:43], vcc
	s_cbranch_execz .LBB8_469
; %bb.406:                              ;   in Loop: Header=BB8_79 Depth=1
	s_mov_b32 s76, 0
	s_mov_b64 s[66:67], 0
                                        ; implicit-def: $sgpr68_sgpr69
                                        ; implicit-def: $sgpr70_sgpr71
	s_branch .LBB8_408
.LBB8_407:                              ;   in Loop: Header=BB8_408 Depth=2
	s_or_b64 exec, exec, s[74:75]
	s_and_b64 vcc, exec, vcc
	s_or_b64 s[66:67], vcc, s[66:67]
	s_andn2_b64 vcc, s[68:69], exec
	s_and_b64 s[68:69], s[70:71], exec
	s_or_b64 s[68:69], vcc, s[68:69]
	s_andn2_b64 exec, exec, s[66:67]
	s_cbranch_execz .LBB8_467
.LBB8_408:                              ;   Parent Loop BB8_79 Depth=1
                                        ; =>  This Inner Loop Header: Depth=2
	s_add_i32 s76, s76, 1
	s_cmpk_lg_i32 s76, 0x2710
	s_cselect_b64 s[72:73], -1, 0
	s_and_b64 vcc, exec, s[72:73]
                                        ; implicit-def: $sgpr74_sgpr75
	s_cbranch_vccnz .LBB8_410
; %bb.409:                              ;   in Loop: Header=BB8_408 Depth=2
	s_trap 2
	ds_read_b64 v[2:3], v0
	s_andn2_b64 s[72:73], s[72:73], exec
	s_mov_b32 s76, 0
	s_mov_b64 s[74:75], -1
	s_waitcnt vmcnt(0) lgkmcnt(0)
	flat_load_dword v1, v[2:3] glc
	s_waitcnt vmcnt(0) lgkmcnt(0)
	buffer_invl2
	buffer_wbinvl1_vol
	v_cmp_eq_u32_e32 vcc, 0, v1
	s_and_b64 vcc, vcc, exec
	s_or_b64 s[72:73], s[72:73], vcc
.LBB8_410:                              ;   in Loop: Header=BB8_408 Depth=2
	s_andn2_b64 s[70:71], s[70:71], exec
	s_and_b64 s[74:75], s[74:75], exec
	s_mov_b64 vcc, -1
	s_or_b64 s[70:71], s[70:71], s[74:75]
	s_and_saveexec_b64 s[74:75], s[72:73]
	s_cbranch_execz .LBB8_407
; %bb.411:                              ;   in Loop: Header=BB8_408 Depth=2
	s_sleep 1
	s_trap 2
	ds_read_b64 v[2:3], v0
	s_andn2_b64 s[70:71], s[70:71], exec
	s_waitcnt lgkmcnt(0)
	v_cmp_ge_u64_e32 vcc, v[2:3], v[28:29]
	s_orn2_b64 vcc, vcc, exec
	s_branch .LBB8_407
.LBB8_412:                              ;   in Loop: Header=BB8_79 Depth=1
	s_or_b64 exec, exec, s[64:65]
	s_and_saveexec_b64 vcc, s[66:67]
	s_xor_b64 vcc, exec, vcc
	s_cbranch_execz .LBB8_414
; %bb.413:                              ;   in Loop: Header=BB8_79 Depth=1
	ds_write_b32 v0, v58
	s_trap 2
.LBB8_414:                              ;   in Loop: Header=BB8_79 Depth=1
	s_or_b64 exec, exec, s[42:43]
	;;#ASMSTART
	s_wakeup
	;;#ASMEND
.LBB8_415:                              ;   in Loop: Header=BB8_79 Depth=1
	s_or_b64 exec, exec, s[40:41]
.LBB8_416:                              ;   in Loop: Header=BB8_79 Depth=1
	s_andn2_saveexec_b64 vcc, s[38:39]
	s_cbranch_execz .LBB8_418
; %bb.417:                              ;   in Loop: Header=BB8_79 Depth=1
	;;#ASMSTART
	s_waitcnt lgkmcnt(0) vmcnt(0)
	;;#ASMEND
	s_barrier
.LBB8_418:                              ;   in Loop: Header=BB8_79 Depth=1
	s_or_b64 exec, exec, vcc
	v_and_b32_e32 v1, 16, v46
.LBB8_419:                              ;   in Loop: Header=BB8_79 Depth=1
	s_or_b64 exec, exec, s[36:37]
	v_cmp_ne_u32_e32 vcc, 0, v1
	s_xor_b64 s[36:37], s[16:17], -1
	s_and_b64 s[36:37], vcc, s[36:37]
	s_and_saveexec_b64 vcc, s[36:37]
	s_cbranch_execz .LBB8_421
; %bb.420:                              ;   in Loop: Header=BB8_79 Depth=1
	flat_store_dword v[44:45], v58
.LBB8_421:                              ;   in Loop: Header=BB8_79 Depth=1
	s_or_b64 exec, exec, vcc
	v_and_b32_e32 v1, 48, v46
	v_cmp_ne_u32_e32 vcc, 0, v1
	s_and_saveexec_b64 s[36:37], vcc
	s_cbranch_execz .LBB8_423
; %bb.422:                              ;   in Loop: Header=BB8_79 Depth=1
	v_add_co_u32_e32 v8, vcc, 1, v8
	v_addc_co_u32_e32 v9, vcc, 0, v9, vcc
	flat_store_dwordx2 v[22:23], v[8:9]
.LBB8_423:                              ;   in Loop: Header=BB8_79 Depth=1
	s_or_b64 exec, exec, s[36:37]
	v_mov_b32_e32 v1, v42
.LBB8_424:                              ;   in Loop: Header=BB8_79 Depth=1
	s_or_b64 exec, exec, s[62:63]
	s_mov_b64 vcc, 0
	s_and_saveexec_b64 s[38:39], s[30:31]
	s_cbranch_execz .LBB8_565
; %bb.425:                              ;   in Loop: Header=BB8_79 Depth=1
	v_and_b32_e32 v2, 12, v46
	v_cmp_ne_u32_e32 vcc, 0, v2
	s_mov_b64 s[40:41], -1
	s_and_saveexec_b64 s[36:37], vcc
	s_cbranch_execz .LBB8_437
; %bb.426:                              ;   in Loop: Header=BB8_79 Depth=1
	v_and_b32_e32 v2, 8, v46
	v_add_co_u32_e32 v14, vcc, v34, v2
	v_addc_co_u32_e32 v15, vcc, 0, v35, vcc
	v_add_co_u32_e32 v12, vcc, 1, v8
	v_addc_co_u32_e32 v13, vcc, 0, v9, vcc
	v_cmp_lt_u64_e32 vcc, v[14:15], v[12:13]
	v_mov_b32_e32 v3, 1
	s_and_saveexec_b64 s[40:41], vcc
	s_cbranch_execz .LBB8_436
; %bb.427:                              ;   in Loop: Header=BB8_79 Depth=1
	s_mov_b64 s[42:43], 0
	v_mov_b32_e32 v3, 0
                                        ; implicit-def: $sgpr62_sgpr63
	s_branch .LBB8_431
.LBB8_428:                              ;   in Loop: Header=BB8_431 Depth=2
	s_or_b64 exec, exec, s[70:71]
	v_mov_b32_e32 v10, 0
	s_orn2_b64 s[68:69], s[68:69], exec
.LBB8_429:                              ;   in Loop: Header=BB8_431 Depth=2
	s_or_b64 exec, exec, s[66:67]
	s_andn2_b64 vcc, s[62:63], exec
	s_and_b64 s[62:63], s[68:69], exec
	s_or_b64 s[62:63], vcc, s[62:63]
	v_mov_b32_e32 v3, v10
.LBB8_430:                              ;   in Loop: Header=BB8_431 Depth=2
	s_or_b64 exec, exec, s[64:65]
	s_waitcnt vmcnt(0) lgkmcnt(0)
	v_add_co_u32_e32 v14, vcc, v34, v2
	v_addc_co_u32_e32 v15, vcc, 0, v35, vcc
	v_cmp_ge_u64_e32 vcc, v[14:15], v[12:13]
	s_xor_b64 s[64:65], s[62:63], -1
	s_or_b64 vcc, s[64:65], vcc
	s_and_b64 vcc, exec, vcc
	s_or_b64 s[42:43], vcc, s[42:43]
	s_andn2_b64 exec, exec, s[42:43]
	s_cbranch_execz .LBB8_435
.LBB8_431:                              ;   Parent Loop BB8_79 Depth=1
                                        ; =>  This Inner Loop Header: Depth=2
	s_sleep 1
	flat_load_dwordx2 v[34:35], v[22:23] glc
	v_and_b32_e32 v10, 64, v46
	v_cmp_eq_u32_e32 vcc, 0, v10
	s_andn2_b64 s[62:63], s[62:63], exec
	s_and_saveexec_b64 s[64:65], vcc
	s_cbranch_execz .LBB8_430
; %bb.432:                              ;   in Loop: Header=BB8_431 Depth=2
	v_add_u32_e32 v10, 1, v3
	v_cmp_lt_i32_e32 vcc, s81, v3
	s_mov_b64 s[68:69], -1
	s_and_saveexec_b64 s[66:67], vcc
	s_cbranch_execz .LBB8_429
; %bb.433:                              ;   in Loop: Header=BB8_431 Depth=2
	s_trap 2
	ds_read_b64 v[14:15], v0
	s_waitcnt vmcnt(0) lgkmcnt(0)
	flat_load_dword v3, v[14:15] glc
	s_waitcnt vmcnt(0) lgkmcnt(0)
	buffer_invl2
	buffer_wbinvl1_vol
	v_cmp_ne_u32_e32 vcc, 0, v3
	s_and_saveexec_b64 s[70:71], vcc
	s_cbranch_execz .LBB8_428
; %bb.434:                              ;   in Loop: Header=BB8_431 Depth=2
	v_or_b32_e32 v46, 64, v46
	s_xor_b64 s[68:69], exec, -1
	ds_write_b32 v0, v3
	s_trap 2
	s_branch .LBB8_428
.LBB8_435:                              ;   in Loop: Header=BB8_79 Depth=1
	s_or_b64 exec, exec, s[42:43]
	v_and_b32_e32 v3, 12, v46
.LBB8_436:                              ;   in Loop: Header=BB8_79 Depth=1
	s_or_b64 exec, exec, s[40:41]
	v_cmp_eq_u32_e32 vcc, 0, v3
	s_orn2_b64 s[40:41], vcc, exec
	;;#ASMSTART
	s_wakeup
	;;#ASMEND
.LBB8_437:                              ;   in Loop: Header=BB8_79 Depth=1
	s_or_b64 exec, exec, s[36:37]
	v_sub_u32_e32 v1, v53, v1
	s_xor_b64 vcc, s[40:41], -1
	v_min_i32_e32 v2, v42, v1
	s_and_saveexec_b64 s[40:41], vcc
	s_cbranch_execz .LBB8_455
; %bb.438:                              ;   in Loop: Header=BB8_79 Depth=1
	v_and_b32_e32 v1, 0x108, v46
	v_cmp_ne_u32_e32 vcc, s82, v1
	v_and_b32_e32 v10, 7, v8
	s_and_saveexec_b64 s[36:37], vcc
	s_xor_b64 vcc, exec, s[36:37]
                                        ; implicit-def: $vgpr12_vgpr13
; %bb.439:                              ;   in Loop: Header=BB8_79 Depth=1
	v_mov_b32_e32 v13, v36
; %bb.440:                              ;   in Loop: Header=BB8_79 Depth=1
	s_andn2_saveexec_b64 vcc, vcc
	s_cbranch_execz .LBB8_442
; %bb.441:                              ;   in Loop: Header=BB8_79 Depth=1
	v_mov_b32_e32 v13, v36
	v_mad_u64_u32 v[14:15], s[36:37], v10, 24, v[6:7]
	v_ashrrev_i32_e32 v3, 31, v2
	flat_store_dwordx2 v[14:15], v[2:3] offset:8
.LBB8_442:                              ;   in Loop: Header=BB8_79 Depth=1
	s_or_b64 exec, exec, vcc
	v_and_b32_e32 v1, 0x100, v46
	v_cmp_ne_u32_e32 vcc, 0, v1
	s_mov_b64 s[36:37], -1
                                        ; implicit-def: $vgpr14_vgpr15
	s_and_saveexec_b64 s[42:43], vcc
	s_cbranch_execz .LBB8_446
; %bb.443:                              ;   in Loop: Header=BB8_79 Depth=1
	v_mad_u64_u32 v[42:43], vcc, v10, 24, v[6:7]
	v_mov_b32_e32 v12, v43
	v_mad_u64_u32 v[14:15], vcc, v13, 24, v[12:13]
	v_mov_b32_e32 v43, v14
	flat_load_dword v1, v[42:43]
                                        ; implicit-def: $vgpr14_vgpr15
	s_waitcnt vmcnt(0) lgkmcnt(0)
	v_cmp_ne_u32_e32 vcc, 1, v1
	v_cmp_eq_u32_e64 s[36:37], 1, v1
	s_and_saveexec_b64 s[62:63], s[36:37]
	s_cbranch_execz .LBB8_445
; %bb.444:                              ;   in Loop: Header=BB8_79 Depth=1
	flat_load_dword v14, v[42:43] offset:4 glc
	s_waitcnt vmcnt(0) lgkmcnt(0)
	v_ashrrev_i32_e32 v15, 31, v14
.LBB8_445:                              ;   in Loop: Header=BB8_79 Depth=1
	s_or_b64 exec, exec, s[62:63]
	s_orn2_b64 s[36:37], vcc, exec
.LBB8_446:                              ;   in Loop: Header=BB8_79 Depth=1
	s_or_b64 exec, exec, s[42:43]
	s_and_saveexec_b64 vcc, s[36:37]
; %bb.447:                              ;   in Loop: Header=BB8_79 Depth=1
	v_accvgpr_read_b32 v3, a7
	v_mul_lo_u32 v1, v13, v52
	v_mul_lo_u32 v3, v10, v3
	v_mad_u64_u32 v[14:15], s[36:37], v10, v52, 0
	v_add3_u32 v15, v15, v3, v1
; %bb.448:                              ;   in Loop: Header=BB8_79 Depth=1
	s_or_b64 exec, exec, vcc
	v_add_co_u32_e32 v12, vcc, v32, v14
	v_addc_co_u32_e32 v13, vcc, v33, v15, vcc
	v_and_b32_e32 v1, 0x2000, v46
	v_cmp_ne_u32_e32 vcc, 0, v1
	s_trap 2
	ds_write_b64 v0, v[12:13]
	s_and_saveexec_b64 s[36:37], vcc
	s_cbranch_execz .LBB8_450
; %bb.449:                              ;   in Loop: Header=BB8_79 Depth=1
	ds_read_b64 v[12:13], v0 offset:584
	s_waitcnt lgkmcnt(0)
	v_add_co_u32_e32 v12, vcc, 1, v12
	v_addc_co_u32_e32 v13, vcc, 0, v13, vcc
	ds_write_b64 v0, v[12:13] offset:584
.LBB8_450:                              ;   in Loop: Header=BB8_79 Depth=1
	s_or_b64 exec, exec, s[36:37]
	v_add_co_u32_e32 v8, vcc, 1, v8
	v_addc_co_u32_e32 v9, vcc, 0, v9, vcc
	s_or_b64 exec, exec, s[40:41]
	s_and_saveexec_b64 s[36:37], s[14:15]
	s_cbranch_execnz .LBB8_456
.LBB8_451:                              ;   in Loop: Header=BB8_79 Depth=1
	s_or_b64 exec, exec, s[36:37]
                                        ; implicit-def: $vgpr1
	s_and_saveexec_b64 vcc, s[28:29]
	s_xor_b64 s[36:37], exec, vcc
	s_cbranch_execz .LBB8_524
.LBB8_452:                              ;   in Loop: Header=BB8_79 Depth=1
	s_trap 2
	ds_read_b32 v3, v0
	v_cmp_lt_i32_e32 vcc, 0, v2
	v_and_b32_e32 v2, 16, v46
	v_and_b32_e32 v1, 16, v46
	s_waitcnt lgkmcnt(0)
	v_readfirstlane_b32 s40, v3
	s_cmp_eq_u32 s40, 0
	s_cselect_b64 s[40:41], -1, 0
	s_and_b64 s[40:41], vcc, s[40:41]
	v_cmp_ne_u32_e32 vcc, 0, v2
	s_and_b64 s[40:41], vcc, s[40:41]
	s_and_saveexec_b64 vcc, s[40:41]
	s_cbranch_execz .LBB8_454
; %bb.453:                              ;   in Loop: Header=BB8_79 Depth=1
	v_mov_b32_e32 v1, 1
	s_waitcnt vmcnt(0)
	buffer_wbinvl1_vol
.LBB8_454:                              ;   in Loop: Header=BB8_79 Depth=1
	s_or_b64 exec, exec, vcc
	s_andn2_saveexec_b64 s[36:37], s[36:37]
	s_cbranch_execz .LBB8_562
	s_branch .LBB8_525
.LBB8_455:                              ;   in Loop: Header=BB8_79 Depth=1
	s_or_b64 exec, exec, s[40:41]
	s_and_saveexec_b64 s[36:37], s[14:15]
	s_cbranch_execz .LBB8_451
.LBB8_456:                              ;   in Loop: Header=BB8_79 Depth=1
	s_and_saveexec_b64 vcc, s[52:53]
	s_xor_b64 s[40:41], exec, vcc
	s_cbranch_execz .LBB8_521
; %bb.457:                              ;   in Loop: Header=BB8_79 Depth=1
	s_and_saveexec_b64 s[42:43], s[20:21]
	s_cbranch_execz .LBB8_520
; %bb.458:                              ;   in Loop: Header=BB8_79 Depth=1
	s_mov_b64 s[64:65], exec
	v_mbcnt_lo_u32_b32 v1, s64, 0
	v_mbcnt_hi_u32_b32 v1, s65, v1
	v_cmp_eq_u32_e32 vcc, 0, v1
	s_waitcnt vmcnt(0) lgkmcnt(0)
	buffer_wbinvl1_vol
	s_and_saveexec_b64 s[62:63], vcc
	s_cbranch_execz .LBB8_460
; %bb.459:                              ;   in Loop: Header=BB8_79 Depth=1
	s_bcnt1_i32_b64 vcc_lo, s[64:65]
	v_mov_b32_e32 v12, vcc_lo
	v_mov_b32_e32 v13, v36
	ds_add_u64 v0, v[12:13]
	s_trap 2
.LBB8_460:                              ;   in Loop: Header=BB8_79 Depth=1
	s_or_b64 exec, exec, s[62:63]
	s_trap 2
	ds_read_b64 v[12:13], v0
	v_add_co_u32_e32 v28, vcc, v28, v30
	v_addc_co_u32_e32 v29, vcc, 0, v29, vcc
	s_waitcnt lgkmcnt(0)
	v_cmp_lt_u64_e32 vcc, v[12:13], v[28:29]
	s_and_saveexec_b64 s[62:63], vcc
	s_cbranch_execz .LBB8_519
; %bb.461:                              ;   in Loop: Header=BB8_79 Depth=1
	s_mov_b32 s74, 0
	s_mov_b64 s[64:65], 0
                                        ; implicit-def: $sgpr66_sgpr67
                                        ; implicit-def: $sgpr68_sgpr69
	s_branch .LBB8_463
.LBB8_462:                              ;   in Loop: Header=BB8_463 Depth=2
	s_or_b64 exec, exec, s[72:73]
	s_and_b64 vcc, exec, vcc
	s_or_b64 s[64:65], vcc, s[64:65]
	s_andn2_b64 vcc, s[66:67], exec
	s_and_b64 s[66:67], s[68:69], exec
	s_or_b64 s[66:67], vcc, s[66:67]
	s_andn2_b64 exec, exec, s[64:65]
	s_cbranch_execz .LBB8_517
.LBB8_463:                              ;   Parent Loop BB8_79 Depth=1
                                        ; =>  This Inner Loop Header: Depth=2
	s_add_i32 s74, s74, 1
	s_cmpk_lg_i32 s74, 0x2710
	s_cselect_b64 s[70:71], -1, 0
	s_and_b64 vcc, exec, s[70:71]
                                        ; implicit-def: $sgpr72_sgpr73
	s_cbranch_vccnz .LBB8_465
; %bb.464:                              ;   in Loop: Header=BB8_463 Depth=2
	s_trap 2
	ds_read_b64 v[12:13], v0
	s_andn2_b64 s[70:71], s[70:71], exec
	s_mov_b32 s74, 0
	s_mov_b64 s[72:73], -1
	s_waitcnt lgkmcnt(0)
	flat_load_dword v1, v[12:13] glc
	s_waitcnt vmcnt(0) lgkmcnt(0)
	buffer_invl2
	buffer_wbinvl1_vol
	v_cmp_eq_u32_e32 vcc, 0, v1
	s_and_b64 vcc, vcc, exec
	s_or_b64 s[70:71], s[70:71], vcc
.LBB8_465:                              ;   in Loop: Header=BB8_463 Depth=2
	s_andn2_b64 s[68:69], s[68:69], exec
	s_and_b64 s[72:73], s[72:73], exec
	s_mov_b64 vcc, -1
	s_or_b64 s[68:69], s[68:69], s[72:73]
	s_and_saveexec_b64 s[72:73], s[70:71]
	s_cbranch_execz .LBB8_462
; %bb.466:                              ;   in Loop: Header=BB8_463 Depth=2
	s_sleep 1
	s_trap 2
	ds_read_b64 v[12:13], v0
	s_andn2_b64 s[68:69], s[68:69], exec
	s_waitcnt lgkmcnt(0)
	v_cmp_ge_u64_e32 vcc, v[12:13], v[28:29]
	s_orn2_b64 vcc, vcc, exec
	s_branch .LBB8_462
.LBB8_467:                              ;   in Loop: Header=BB8_79 Depth=1
	s_or_b64 exec, exec, s[66:67]
	s_and_saveexec_b64 vcc, s[68:69]
	s_xor_b64 vcc, exec, vcc
	s_cbranch_execz .LBB8_469
; %bb.468:                              ;   in Loop: Header=BB8_79 Depth=1
	ds_write_b32 v0, v58
	s_trap 2
.LBB8_469:                              ;   in Loop: Header=BB8_79 Depth=1
	s_or_b64 exec, exec, s[42:43]
	;;#ASMSTART
	s_wakeup
	;;#ASMEND
.LBB8_470:                              ;   in Loop: Header=BB8_79 Depth=1
	s_or_b64 exec, exec, s[40:41]
.LBB8_471:                              ;   in Loop: Header=BB8_79 Depth=1
	s_andn2_saveexec_b64 vcc, s[38:39]
	s_cbranch_execz .LBB8_473
; %bb.472:                              ;   in Loop: Header=BB8_79 Depth=1
	;;#ASMSTART
	s_waitcnt lgkmcnt(0) vmcnt(0)
	;;#ASMEND
	s_barrier
.LBB8_473:                              ;   in Loop: Header=BB8_79 Depth=1
	s_or_b64 exec, exec, vcc
	v_and_b32_e32 v1, 16, v46
	s_or_b64 exec, exec, s[36:37]
	v_cmp_ne_u32_e32 vcc, 0, v1
	s_and_saveexec_b64 s[36:37], vcc
	s_cbranch_execz .LBB8_477
.LBB8_474:                              ;   in Loop: Header=BB8_79 Depth=1
	s_and_saveexec_b64 vcc, s[18:19]
	s_cbranch_execz .LBB8_476
; %bb.475:                              ;   in Loop: Header=BB8_79 Depth=1
	flat_store_dword v[44:45], v58
.LBB8_476:                              ;   in Loop: Header=BB8_79 Depth=1
	s_or_b64 exec, exec, vcc
	v_add_co_u32_e32 v8, vcc, 1, v8
	v_addc_co_u32_e32 v9, vcc, 0, v9, vcc
	flat_store_dwordx2 v[22:23], v[8:9]
.LBB8_477:                              ;   in Loop: Header=BB8_79 Depth=1
	s_or_b64 exec, exec, s[36:37]
	v_mov_b32_e32 v1, v42
.LBB8_478:                              ;   in Loop: Header=BB8_79 Depth=1
	s_or_b64 exec, exec, s[64:65]
	s_mov_b64 vcc, 0
	s_mov_b64 s[40:41], s[58:59]
	s_and_saveexec_b64 s[38:39], s[30:31]
	s_cbranch_execz .LBB8_614
; %bb.479:                              ;   in Loop: Header=BB8_79 Depth=1
	v_and_b32_e32 v2, 8, v46
	v_cmp_ne_u32_e32 vcc, 0, v2
	s_mov_b64 s[40:41], -1
	s_and_saveexec_b64 s[36:37], vcc
	s_cbranch_execz .LBB8_491
; %bb.480:                              ;   in Loop: Header=BB8_79 Depth=1
	v_add_co_u32_e32 v12, vcc, 8, v34
	v_addc_co_u32_e32 v13, vcc, 0, v35, vcc
	v_add_co_u32_e32 v2, vcc, 1, v8
	v_addc_co_u32_e32 v3, vcc, 0, v9, vcc
	v_cmp_lt_u64_e32 vcc, v[12:13], v[2:3]
	v_mov_b32_e32 v10, 1
	s_and_saveexec_b64 s[40:41], vcc
	s_cbranch_execz .LBB8_490
; %bb.481:                              ;   in Loop: Header=BB8_79 Depth=1
	s_mov_b64 s[42:43], 0
	v_mov_b32_e32 v10, 0
                                        ; implicit-def: $sgpr64_sgpr65
	s_branch .LBB8_485
.LBB8_482:                              ;   in Loop: Header=BB8_485 Depth=2
	s_or_b64 exec, exec, s[72:73]
	v_mov_b32_e32 v12, 0
	s_orn2_b64 s[70:71], s[70:71], exec
.LBB8_483:                              ;   in Loop: Header=BB8_485 Depth=2
	s_or_b64 exec, exec, s[68:69]
	s_andn2_b64 vcc, s[64:65], exec
	s_and_b64 s[64:65], s[70:71], exec
	s_or_b64 s[64:65], vcc, s[64:65]
	v_mov_b32_e32 v10, v12
.LBB8_484:                              ;   in Loop: Header=BB8_485 Depth=2
	s_or_b64 exec, exec, s[66:67]
	s_waitcnt vmcnt(0) lgkmcnt(0)
	v_add_co_u32_e32 v12, vcc, 8, v34
	v_addc_co_u32_e32 v13, vcc, 0, v35, vcc
	v_cmp_ge_u64_e32 vcc, v[12:13], v[2:3]
	s_xor_b64 s[66:67], s[64:65], -1
	s_or_b64 vcc, s[66:67], vcc
	s_and_b64 vcc, exec, vcc
	s_or_b64 s[42:43], vcc, s[42:43]
	s_andn2_b64 exec, exec, s[42:43]
	s_cbranch_execz .LBB8_489
.LBB8_485:                              ;   Parent Loop BB8_79 Depth=1
                                        ; =>  This Inner Loop Header: Depth=2
	s_sleep 1
	flat_load_dwordx2 v[34:35], v[22:23] glc
	v_and_b32_e32 v11, 64, v46
	v_cmp_eq_u32_e32 vcc, 0, v11
	s_andn2_b64 s[64:65], s[64:65], exec
	s_and_saveexec_b64 s[66:67], vcc
	s_cbranch_execz .LBB8_484
; %bb.486:                              ;   in Loop: Header=BB8_485 Depth=2
	v_add_u32_e32 v12, 1, v10
	v_cmp_lt_i32_e32 vcc, s81, v10
	s_mov_b64 s[70:71], -1
	s_and_saveexec_b64 s[68:69], vcc
	s_cbranch_execz .LBB8_483
; %bb.487:                              ;   in Loop: Header=BB8_485 Depth=2
	s_trap 2
	ds_read_b64 v[12:13], v0
	s_waitcnt vmcnt(0) lgkmcnt(0)
	flat_load_dword v10, v[12:13] glc
	s_waitcnt vmcnt(0) lgkmcnt(0)
	buffer_invl2
	buffer_wbinvl1_vol
	v_cmp_ne_u32_e32 vcc, 0, v10
	s_and_saveexec_b64 s[72:73], vcc
	s_cbranch_execz .LBB8_482
; %bb.488:                              ;   in Loop: Header=BB8_485 Depth=2
	v_or_b32_e32 v46, 64, v46
	s_xor_b64 s[70:71], exec, -1
	ds_write_b32 v0, v10
	s_trap 2
	s_branch .LBB8_482
.LBB8_489:                              ;   in Loop: Header=BB8_79 Depth=1
	s_or_b64 exec, exec, s[42:43]
	v_and_b32_e32 v10, 8, v46
.LBB8_490:                              ;   in Loop: Header=BB8_79 Depth=1
	s_or_b64 exec, exec, s[40:41]
	v_cmp_eq_u32_e32 vcc, 0, v10
	s_orn2_b64 s[40:41], vcc, exec
	;;#ASMSTART
	s_wakeup
	;;#ASMEND
.LBB8_491:                              ;   in Loop: Header=BB8_79 Depth=1
	s_or_b64 exec, exec, s[36:37]
	v_sub_u32_e32 v1, v53, v1
	s_xor_b64 vcc, s[40:41], -1
	v_min_i32_e32 v2, v42, v1
	s_and_saveexec_b64 s[40:41], vcc
	s_cbranch_execz .LBB8_505
; %bb.492:                              ;   in Loop: Header=BB8_79 Depth=1
	v_and_b32_e32 v1, 0x100, v46
	v_cmp_ne_u32_e32 vcc, 0, v1
	v_and_b32_e32 v1, 7, v8
	s_mov_b64 s[36:37], -1
                                        ; implicit-def: $vgpr12_vgpr13
	s_and_saveexec_b64 s[42:43], vcc
	s_cbranch_execz .LBB8_496
; %bb.493:                              ;   in Loop: Header=BB8_79 Depth=1
	v_mad_u64_u32 v[14:15], vcc, v1, 24, v[6:7]
	flat_load_dword v10, v[14:15]
	v_ashrrev_i32_e32 v3, 31, v2
	flat_store_dwordx2 v[14:15], v[2:3] offset:8
                                        ; implicit-def: $vgpr12_vgpr13
	s_waitcnt vmcnt(0) lgkmcnt(0)
	v_cmp_ne_u32_e32 vcc, 1, v10
	v_cmp_eq_u32_e64 s[36:37], 1, v10
	s_and_saveexec_b64 s[64:65], s[36:37]
	s_cbranch_execz .LBB8_495
; %bb.494:                              ;   in Loop: Header=BB8_79 Depth=1
	flat_load_dword v12, v[14:15] offset:4 glc
	s_waitcnt vmcnt(0) lgkmcnt(0)
	v_ashrrev_i32_e32 v13, 31, v12
.LBB8_495:                              ;   in Loop: Header=BB8_79 Depth=1
	s_or_b64 exec, exec, s[64:65]
	s_orn2_b64 s[36:37], vcc, exec
.LBB8_496:                              ;   in Loop: Header=BB8_79 Depth=1
	s_or_b64 exec, exec, s[42:43]
	s_and_saveexec_b64 vcc, s[36:37]
; %bb.497:                              ;   in Loop: Header=BB8_79 Depth=1
	v_mad_i64_i32 v[12:13], s[36:37], v1, v52, 0
; %bb.498:                              ;   in Loop: Header=BB8_79 Depth=1
	s_or_b64 exec, exec, vcc
	v_add_co_u32_e32 v12, vcc, v32, v12
	v_addc_co_u32_e32 v13, vcc, v33, v13, vcc
	v_and_b32_e32 v1, 0x2000, v46
	v_cmp_ne_u32_e32 vcc, 0, v1
	ds_write_b64 v0, v[12:13] offset:792
	s_and_saveexec_b64 s[36:37], vcc
	s_cbranch_execz .LBB8_500
; %bb.499:                              ;   in Loop: Header=BB8_79 Depth=1
	ds_read_b64 v[12:13], v0 offset:584
	s_waitcnt lgkmcnt(0)
	v_add_co_u32_e32 v12, vcc, 1, v12
	v_addc_co_u32_e32 v13, vcc, 0, v13, vcc
	ds_write_b64 v0, v[12:13] offset:584
.LBB8_500:                              ;   in Loop: Header=BB8_79 Depth=1
	s_or_b64 exec, exec, s[36:37]
	v_add_co_u32_e32 v8, vcc, 1, v8
	v_addc_co_u32_e32 v9, vcc, 0, v9, vcc
	s_or_b64 exec, exec, s[40:41]
	s_and_saveexec_b64 s[36:37], s[14:15]
	s_cbranch_execnz .LBB8_506
.LBB8_501:                              ;   in Loop: Header=BB8_79 Depth=1
	s_or_b64 exec, exec, s[36:37]
                                        ; implicit-def: $vgpr1
	s_and_saveexec_b64 vcc, s[28:29]
	s_xor_b64 s[36:37], exec, vcc
	s_cbranch_execz .LBB8_543
.LBB8_502:                              ;   in Loop: Header=BB8_79 Depth=1
	s_trap 2
	ds_read_b32 v3, v0
	v_cmp_lt_i32_e32 vcc, 0, v2
	v_and_b32_e32 v2, 16, v46
	v_and_b32_e32 v1, 16, v46
	s_waitcnt lgkmcnt(0)
	v_readfirstlane_b32 s40, v3
	s_cmp_eq_u32 s40, 0
	s_cselect_b64 s[40:41], -1, 0
	s_and_b64 s[40:41], vcc, s[40:41]
	v_cmp_ne_u32_e32 vcc, 0, v2
	s_and_b64 s[40:41], vcc, s[40:41]
	s_and_saveexec_b64 vcc, s[40:41]
	s_cbranch_execz .LBB8_504
; %bb.503:                              ;   in Loop: Header=BB8_79 Depth=1
	v_mov_b32_e32 v1, 1
	s_waitcnt vmcnt(0)
	buffer_wbinvl1_vol
.LBB8_504:                              ;   in Loop: Header=BB8_79 Depth=1
	s_or_b64 exec, exec, vcc
	s_andn2_saveexec_b64 s[36:37], s[36:37]
	s_cbranch_execz .LBB8_611
	s_branch .LBB8_544
.LBB8_505:                              ;   in Loop: Header=BB8_79 Depth=1
	s_or_b64 exec, exec, s[40:41]
	s_and_saveexec_b64 s[36:37], s[14:15]
	s_cbranch_execz .LBB8_501
.LBB8_506:                              ;   in Loop: Header=BB8_79 Depth=1
	s_and_saveexec_b64 vcc, s[52:53]
	s_xor_b64 s[40:41], exec, vcc
	s_cbranch_execz .LBB8_540
; %bb.507:                              ;   in Loop: Header=BB8_79 Depth=1
	s_and_saveexec_b64 s[42:43], s[20:21]
	s_cbranch_execz .LBB8_539
; %bb.508:                              ;   in Loop: Header=BB8_79 Depth=1
	s_mov_b64 s[66:67], exec
	v_mbcnt_lo_u32_b32 v1, s66, 0
	v_mbcnt_hi_u32_b32 v1, s67, v1
	v_cmp_eq_u32_e32 vcc, 0, v1
	s_waitcnt vmcnt(0) lgkmcnt(0)
	buffer_wbinvl1_vol
	s_and_saveexec_b64 s[64:65], vcc
	s_cbranch_execz .LBB8_510
; %bb.509:                              ;   in Loop: Header=BB8_79 Depth=1
	s_bcnt1_i32_b64 vcc_lo, s[66:67]
	v_mov_b32_e32 v12, vcc_lo
	v_mov_b32_e32 v13, v36
	ds_add_u64 v0, v[12:13]
	s_trap 2
.LBB8_510:                              ;   in Loop: Header=BB8_79 Depth=1
	s_or_b64 exec, exec, s[64:65]
	s_trap 2
	ds_read_b64 v[12:13], v0
	v_add_co_u32_e32 v28, vcc, v28, v30
	v_addc_co_u32_e32 v29, vcc, 0, v29, vcc
	s_waitcnt lgkmcnt(0)
	v_cmp_lt_u64_e32 vcc, v[12:13], v[28:29]
	s_and_saveexec_b64 s[64:65], vcc
	s_cbranch_execz .LBB8_538
; %bb.511:                              ;   in Loop: Header=BB8_79 Depth=1
	s_mov_b32 s76, 0
	s_mov_b64 s[66:67], 0
                                        ; implicit-def: $sgpr68_sgpr69
                                        ; implicit-def: $sgpr70_sgpr71
	s_branch .LBB8_513
.LBB8_512:                              ;   in Loop: Header=BB8_513 Depth=2
	s_or_b64 exec, exec, s[74:75]
	s_and_b64 vcc, exec, vcc
	s_or_b64 s[66:67], vcc, s[66:67]
	s_andn2_b64 vcc, s[68:69], exec
	s_and_b64 s[68:69], s[70:71], exec
	s_or_b64 s[68:69], vcc, s[68:69]
	s_andn2_b64 exec, exec, s[66:67]
	s_cbranch_execz .LBB8_536
.LBB8_513:                              ;   Parent Loop BB8_79 Depth=1
                                        ; =>  This Inner Loop Header: Depth=2
	s_add_i32 s76, s76, 1
	s_cmpk_lg_i32 s76, 0x2710
	s_cselect_b64 s[72:73], -1, 0
	s_and_b64 vcc, exec, s[72:73]
                                        ; implicit-def: $sgpr74_sgpr75
	s_cbranch_vccnz .LBB8_515
; %bb.514:                              ;   in Loop: Header=BB8_513 Depth=2
	s_trap 2
	ds_read_b64 v[12:13], v0
	s_andn2_b64 s[72:73], s[72:73], exec
	s_mov_b32 s76, 0
	s_mov_b64 s[74:75], -1
	s_waitcnt lgkmcnt(0)
	flat_load_dword v1, v[12:13] glc
	s_waitcnt vmcnt(0) lgkmcnt(0)
	buffer_invl2
	buffer_wbinvl1_vol
	v_cmp_eq_u32_e32 vcc, 0, v1
	s_and_b64 vcc, vcc, exec
	s_or_b64 s[72:73], s[72:73], vcc
.LBB8_515:                              ;   in Loop: Header=BB8_513 Depth=2
	s_andn2_b64 s[70:71], s[70:71], exec
	s_and_b64 s[74:75], s[74:75], exec
	s_mov_b64 vcc, -1
	s_or_b64 s[70:71], s[70:71], s[74:75]
	s_and_saveexec_b64 s[74:75], s[72:73]
	s_cbranch_execz .LBB8_512
; %bb.516:                              ;   in Loop: Header=BB8_513 Depth=2
	s_sleep 1
	s_trap 2
	ds_read_b64 v[12:13], v0
	s_andn2_b64 s[70:71], s[70:71], exec
	s_waitcnt lgkmcnt(0)
	v_cmp_ge_u64_e32 vcc, v[12:13], v[28:29]
	s_orn2_b64 vcc, vcc, exec
	s_branch .LBB8_512
.LBB8_517:                              ;   in Loop: Header=BB8_79 Depth=1
	s_or_b64 exec, exec, s[64:65]
	s_and_saveexec_b64 vcc, s[66:67]
	s_xor_b64 vcc, exec, vcc
	s_cbranch_execz .LBB8_519
; %bb.518:                              ;   in Loop: Header=BB8_79 Depth=1
	ds_write_b32 v0, v58
	s_trap 2
.LBB8_519:                              ;   in Loop: Header=BB8_79 Depth=1
	s_or_b64 exec, exec, s[62:63]
	;;#ASMSTART
	s_wakeup
	;;#ASMEND
.LBB8_520:                              ;   in Loop: Header=BB8_79 Depth=1
	s_or_b64 exec, exec, s[42:43]
.LBB8_521:                              ;   in Loop: Header=BB8_79 Depth=1
	s_andn2_saveexec_b64 vcc, s[40:41]
	s_cbranch_execz .LBB8_523
; %bb.522:                              ;   in Loop: Header=BB8_79 Depth=1
	s_waitcnt vmcnt(0) lgkmcnt(0)
	buffer_wbinvl1_vol
	s_barrier
.LBB8_523:                              ;   in Loop: Header=BB8_79 Depth=1
	s_or_b64 exec, exec, vcc
	s_or_b64 exec, exec, s[36:37]
                                        ; implicit-def: $vgpr1
	s_and_saveexec_b64 vcc, s[28:29]
	s_xor_b64 s[36:37], exec, vcc
	s_cbranch_execnz .LBB8_452
.LBB8_524:                              ;   in Loop: Header=BB8_79 Depth=1
	s_andn2_saveexec_b64 s[36:37], s[36:37]
	s_cbranch_execz .LBB8_562
.LBB8_525:                              ;   in Loop: Header=BB8_79 Depth=1
	s_and_saveexec_b64 vcc, s[52:53]
	s_xor_b64 s[40:41], exec, vcc
	s_cbranch_execz .LBB8_559
; %bb.526:                              ;   in Loop: Header=BB8_79 Depth=1
	s_and_saveexec_b64 s[42:43], s[20:21]
	s_cbranch_execz .LBB8_558
; %bb.527:                              ;   in Loop: Header=BB8_79 Depth=1
	s_mov_b64 s[64:65], exec
	v_mbcnt_lo_u32_b32 v1, s64, 0
	v_mbcnt_hi_u32_b32 v1, s65, v1
	v_cmp_eq_u32_e32 vcc, 0, v1
	;;#ASMSTART
	s_waitcnt lgkmcnt(0) vmcnt(0)
	;;#ASMEND
	s_and_saveexec_b64 s[62:63], vcc
	s_cbranch_execz .LBB8_529
; %bb.528:                              ;   in Loop: Header=BB8_79 Depth=1
	s_bcnt1_i32_b64 vcc_lo, s[64:65]
	v_mov_b32_e32 v2, vcc_lo
	v_mov_b32_e32 v3, v36
	ds_add_u64 v0, v[2:3]
	s_trap 2
.LBB8_529:                              ;   in Loop: Header=BB8_79 Depth=1
	s_or_b64 exec, exec, s[62:63]
	s_trap 2
	ds_read_b64 v[2:3], v0
	v_add_co_u32_e32 v28, vcc, v28, v30
	v_addc_co_u32_e32 v29, vcc, 0, v29, vcc
	s_waitcnt lgkmcnt(0)
	v_cmp_lt_u64_e32 vcc, v[2:3], v[28:29]
	s_and_saveexec_b64 s[62:63], vcc
	s_cbranch_execz .LBB8_557
; %bb.530:                              ;   in Loop: Header=BB8_79 Depth=1
	s_mov_b32 s74, 0
	s_mov_b64 s[64:65], 0
                                        ; implicit-def: $sgpr66_sgpr67
                                        ; implicit-def: $sgpr68_sgpr69
	s_branch .LBB8_532
.LBB8_531:                              ;   in Loop: Header=BB8_532 Depth=2
	s_or_b64 exec, exec, s[72:73]
	s_and_b64 vcc, exec, vcc
	s_or_b64 s[64:65], vcc, s[64:65]
	s_andn2_b64 vcc, s[66:67], exec
	s_and_b64 s[66:67], s[68:69], exec
	s_or_b64 s[66:67], vcc, s[66:67]
	s_andn2_b64 exec, exec, s[64:65]
	s_cbranch_execz .LBB8_555
.LBB8_532:                              ;   Parent Loop BB8_79 Depth=1
                                        ; =>  This Inner Loop Header: Depth=2
	s_add_i32 s74, s74, 1
	s_cmpk_lg_i32 s74, 0x2710
	s_cselect_b64 s[70:71], -1, 0
	s_and_b64 vcc, exec, s[70:71]
                                        ; implicit-def: $sgpr72_sgpr73
	s_cbranch_vccnz .LBB8_534
; %bb.533:                              ;   in Loop: Header=BB8_532 Depth=2
	s_trap 2
	ds_read_b64 v[2:3], v0
	s_andn2_b64 s[70:71], s[70:71], exec
	s_mov_b32 s74, 0
	s_mov_b64 s[72:73], -1
	s_waitcnt vmcnt(0) lgkmcnt(0)
	flat_load_dword v1, v[2:3] glc
	s_waitcnt vmcnt(0) lgkmcnt(0)
	buffer_invl2
	buffer_wbinvl1_vol
	v_cmp_eq_u32_e32 vcc, 0, v1
	s_and_b64 vcc, vcc, exec
	s_or_b64 s[70:71], s[70:71], vcc
.LBB8_534:                              ;   in Loop: Header=BB8_532 Depth=2
	s_andn2_b64 s[68:69], s[68:69], exec
	s_and_b64 s[72:73], s[72:73], exec
	s_mov_b64 vcc, -1
	s_or_b64 s[68:69], s[68:69], s[72:73]
	s_and_saveexec_b64 s[72:73], s[70:71]
	s_cbranch_execz .LBB8_531
; %bb.535:                              ;   in Loop: Header=BB8_532 Depth=2
	s_sleep 1
	s_trap 2
	ds_read_b64 v[2:3], v0
	s_andn2_b64 s[68:69], s[68:69], exec
	s_waitcnt lgkmcnt(0)
	v_cmp_ge_u64_e32 vcc, v[2:3], v[28:29]
	s_orn2_b64 vcc, vcc, exec
	s_branch .LBB8_531
.LBB8_536:                              ;   in Loop: Header=BB8_79 Depth=1
	s_or_b64 exec, exec, s[66:67]
	s_and_saveexec_b64 vcc, s[68:69]
	s_xor_b64 vcc, exec, vcc
	s_cbranch_execz .LBB8_538
; %bb.537:                              ;   in Loop: Header=BB8_79 Depth=1
	ds_write_b32 v0, v58
	s_trap 2
.LBB8_538:                              ;   in Loop: Header=BB8_79 Depth=1
	s_or_b64 exec, exec, s[64:65]
	;;#ASMSTART
	s_wakeup
	;;#ASMEND
.LBB8_539:                              ;   in Loop: Header=BB8_79 Depth=1
	s_or_b64 exec, exec, s[42:43]
.LBB8_540:                              ;   in Loop: Header=BB8_79 Depth=1
	s_andn2_saveexec_b64 vcc, s[40:41]
	s_cbranch_execz .LBB8_542
; %bb.541:                              ;   in Loop: Header=BB8_79 Depth=1
	s_waitcnt vmcnt(0) lgkmcnt(0)
	buffer_wbinvl1_vol
	s_barrier
.LBB8_542:                              ;   in Loop: Header=BB8_79 Depth=1
	s_or_b64 exec, exec, vcc
	s_or_b64 exec, exec, s[36:37]
                                        ; implicit-def: $vgpr1
	s_and_saveexec_b64 vcc, s[28:29]
	s_xor_b64 s[36:37], exec, vcc
	s_cbranch_execnz .LBB8_502
.LBB8_543:                              ;   in Loop: Header=BB8_79 Depth=1
	s_andn2_saveexec_b64 s[36:37], s[36:37]
	s_cbranch_execz .LBB8_611
.LBB8_544:                              ;   in Loop: Header=BB8_79 Depth=1
	s_and_saveexec_b64 vcc, s[52:53]
	s_xor_b64 s[40:41], exec, vcc
	s_cbranch_execz .LBB8_608
; %bb.545:                              ;   in Loop: Header=BB8_79 Depth=1
	s_and_saveexec_b64 s[42:43], s[20:21]
	s_cbranch_execz .LBB8_607
; %bb.546:                              ;   in Loop: Header=BB8_79 Depth=1
	s_mov_b64 s[66:67], exec
	v_mbcnt_lo_u32_b32 v1, s66, 0
	v_mbcnt_hi_u32_b32 v1, s67, v1
	v_cmp_eq_u32_e32 vcc, 0, v1
	;;#ASMSTART
	s_waitcnt lgkmcnt(0) vmcnt(0)
	;;#ASMEND
	s_and_saveexec_b64 s[64:65], vcc
	s_cbranch_execz .LBB8_548
; %bb.547:                              ;   in Loop: Header=BB8_79 Depth=1
	s_bcnt1_i32_b64 vcc_lo, s[66:67]
	v_mov_b32_e32 v2, vcc_lo
	v_mov_b32_e32 v3, v36
	ds_add_u64 v0, v[2:3]
	s_trap 2
.LBB8_548:                              ;   in Loop: Header=BB8_79 Depth=1
	s_or_b64 exec, exec, s[64:65]
	s_trap 2
	ds_read_b64 v[2:3], v0
	v_add_co_u32_e32 v28, vcc, v28, v30
	v_addc_co_u32_e32 v29, vcc, 0, v29, vcc
	s_waitcnt lgkmcnt(0)
	v_cmp_lt_u64_e32 vcc, v[2:3], v[28:29]
	s_and_saveexec_b64 s[64:65], vcc
	s_cbranch_execz .LBB8_606
; %bb.549:                              ;   in Loop: Header=BB8_79 Depth=1
	s_mov_b32 s76, 0
	s_mov_b64 s[66:67], 0
                                        ; implicit-def: $sgpr68_sgpr69
                                        ; implicit-def: $sgpr70_sgpr71
	s_branch .LBB8_551
.LBB8_550:                              ;   in Loop: Header=BB8_551 Depth=2
	s_or_b64 exec, exec, s[74:75]
	s_and_b64 vcc, exec, vcc
	s_or_b64 s[66:67], vcc, s[66:67]
	s_andn2_b64 vcc, s[68:69], exec
	s_and_b64 s[68:69], s[70:71], exec
	s_or_b64 s[68:69], vcc, s[68:69]
	s_andn2_b64 exec, exec, s[66:67]
	s_cbranch_execz .LBB8_604
.LBB8_551:                              ;   Parent Loop BB8_79 Depth=1
                                        ; =>  This Inner Loop Header: Depth=2
	s_add_i32 s76, s76, 1
	s_cmpk_lg_i32 s76, 0x2710
	s_cselect_b64 s[72:73], -1, 0
	s_and_b64 vcc, exec, s[72:73]
                                        ; implicit-def: $sgpr74_sgpr75
	s_cbranch_vccnz .LBB8_553
; %bb.552:                              ;   in Loop: Header=BB8_551 Depth=2
	s_trap 2
	ds_read_b64 v[2:3], v0
	s_andn2_b64 s[72:73], s[72:73], exec
	s_mov_b32 s76, 0
	s_mov_b64 s[74:75], -1
	s_waitcnt vmcnt(0) lgkmcnt(0)
	flat_load_dword v1, v[2:3] glc
	s_waitcnt vmcnt(0) lgkmcnt(0)
	buffer_invl2
	buffer_wbinvl1_vol
	v_cmp_eq_u32_e32 vcc, 0, v1
	s_and_b64 vcc, vcc, exec
	s_or_b64 s[72:73], s[72:73], vcc
.LBB8_553:                              ;   in Loop: Header=BB8_551 Depth=2
	s_andn2_b64 s[70:71], s[70:71], exec
	s_and_b64 s[74:75], s[74:75], exec
	s_mov_b64 vcc, -1
	s_or_b64 s[70:71], s[70:71], s[74:75]
	s_and_saveexec_b64 s[74:75], s[72:73]
	s_cbranch_execz .LBB8_550
; %bb.554:                              ;   in Loop: Header=BB8_551 Depth=2
	s_sleep 1
	s_trap 2
	ds_read_b64 v[2:3], v0
	s_andn2_b64 s[70:71], s[70:71], exec
	s_waitcnt lgkmcnt(0)
	v_cmp_ge_u64_e32 vcc, v[2:3], v[28:29]
	s_orn2_b64 vcc, vcc, exec
	s_branch .LBB8_550
.LBB8_555:                              ;   in Loop: Header=BB8_79 Depth=1
	s_or_b64 exec, exec, s[64:65]
	s_and_saveexec_b64 vcc, s[66:67]
	s_xor_b64 vcc, exec, vcc
	s_cbranch_execz .LBB8_557
; %bb.556:                              ;   in Loop: Header=BB8_79 Depth=1
	ds_write_b32 v0, v58
	s_trap 2
.LBB8_557:                              ;   in Loop: Header=BB8_79 Depth=1
	s_or_b64 exec, exec, s[62:63]
	;;#ASMSTART
	s_wakeup
	;;#ASMEND
.LBB8_558:                              ;   in Loop: Header=BB8_79 Depth=1
	s_or_b64 exec, exec, s[42:43]
.LBB8_559:                              ;   in Loop: Header=BB8_79 Depth=1
	s_andn2_saveexec_b64 vcc, s[40:41]
	s_cbranch_execz .LBB8_561
; %bb.560:                              ;   in Loop: Header=BB8_79 Depth=1
	;;#ASMSTART
	s_waitcnt lgkmcnt(0) vmcnt(0)
	;;#ASMEND
	s_barrier
.LBB8_561:                              ;   in Loop: Header=BB8_79 Depth=1
	s_or_b64 exec, exec, vcc
	v_and_b32_e32 v1, 16, v46
.LBB8_562:                              ;   in Loop: Header=BB8_79 Depth=1
	s_or_b64 exec, exec, s[36:37]
	v_cmp_ne_u32_e32 vcc, 0, v1
	s_xor_b64 s[36:37], s[16:17], -1
	s_and_b64 s[36:37], vcc, s[36:37]
	s_and_saveexec_b64 vcc, s[36:37]
	s_cbranch_execz .LBB8_564
; %bb.563:                              ;   in Loop: Header=BB8_79 Depth=1
	flat_store_dword v[44:45], v58
.LBB8_564:                              ;   in Loop: Header=BB8_79 Depth=1
	s_or_b64 exec, exec, vcc
	v_and_b32_e32 v1, 48, v46
	v_cmp_ne_u32_e32 vcc, 0, v1
	s_and_b64 vcc, vcc, exec
.LBB8_565:                              ;   in Loop: Header=BB8_79 Depth=1
	s_or_b64 exec, exec, s[38:39]
	s_and_b64 s[38:39], vcc, exec
                                        ; implicit-def: $vgpr42
                                        ; implicit-def: $vgpr53
                                        ; implicit-def: $vgpr2
                                        ; implicit-def: $vgpr3
.LBB8_566:                              ;   in Loop: Header=BB8_79 Depth=1
	s_andn2_saveexec_b64 s[40:41], s[58:59]
	s_cbranch_execz .LBB8_994
; %bb.567:                              ;   in Loop: Header=BB8_79 Depth=1
	v_mov_b32_e32 v1, 0
	s_and_saveexec_b64 s[42:43], s[34:35]
	s_cbranch_execz .LBB8_844
; %bb.568:                              ;   in Loop: Header=BB8_79 Depth=1
	s_and_saveexec_b64 s[36:37], s[4:5]
	s_cbranch_execz .LBB8_570
; %bb.569:                              ;   in Loop: Header=BB8_79 Depth=1
	s_trap 2
	ds_read_b128 v[12:15], v0
	s_waitcnt lgkmcnt(0)
	v_add_co_u32_e32 v12, vcc, v12, v2
	v_addc_co_u32_e32 v13, vcc, v13, v3, vcc
	v_add_co_u32_e32 v1, vcc, v14, v2
	v_addc_co_u32_e32 v2, vcc, v15, v3, vcc
	v_cmp_ne_u64_e32 vcc, 0, v[14:15]
	v_cndmask_b32_e32 v3, 0, v2, vcc
	v_cndmask_b32_e32 v2, 0, v1, vcc
	ds_write_b64 v0, v[12:13]
	ds_write_b64 v0, v[2:3]
.LBB8_570:                              ;   in Loop: Header=BB8_79 Depth=1
	s_or_b64 exec, exec, s[36:37]
	v_and_b32_e32 v1, 4, v46
	v_cmp_ne_u32_e32 vcc, 0, v1
	s_mov_b64 s[58:59], -1
	s_and_saveexec_b64 s[36:37], vcc
	s_cbranch_execz .LBB8_580
; %bb.571:                              ;   in Loop: Header=BB8_79 Depth=1
	v_add_co_u32_e32 v2, vcc, 1, v8
	v_addc_co_u32_e32 v3, vcc, 0, v9, vcc
	v_cmp_lt_u64_e32 vcc, v[34:35], v[2:3]
	v_mov_b32_e32 v1, 1
	s_and_saveexec_b64 s[58:59], vcc
	s_cbranch_execz .LBB8_591
; %bb.572:                              ;   in Loop: Header=BB8_79 Depth=1
	s_mov_b64 s[62:63], 0
	v_mov_b32_e32 v1, 0
                                        ; implicit-def: $sgpr64_sgpr65
	s_branch .LBB8_576
.LBB8_573:                              ;   in Loop: Header=BB8_576 Depth=2
	s_or_b64 exec, exec, s[72:73]
	v_mov_b32_e32 v10, 0
	s_orn2_b64 s[70:71], s[70:71], exec
.LBB8_574:                              ;   in Loop: Header=BB8_576 Depth=2
	s_or_b64 exec, exec, s[68:69]
	s_andn2_b64 vcc, s[64:65], exec
	s_and_b64 s[64:65], s[70:71], exec
	s_or_b64 s[64:65], vcc, s[64:65]
	v_mov_b32_e32 v1, v10
.LBB8_575:                              ;   in Loop: Header=BB8_576 Depth=2
	s_or_b64 exec, exec, s[66:67]
	s_waitcnt vmcnt(0) lgkmcnt(0)
	v_cmp_ge_u64_e32 vcc, v[34:35], v[2:3]
	s_xor_b64 s[66:67], s[64:65], -1
	s_or_b64 vcc, s[66:67], vcc
	s_and_b64 vcc, exec, vcc
	s_or_b64 s[62:63], vcc, s[62:63]
	s_andn2_b64 exec, exec, s[62:63]
	s_cbranch_execz .LBB8_590
.LBB8_576:                              ;   Parent Loop BB8_79 Depth=1
                                        ; =>  This Inner Loop Header: Depth=2
	s_sleep 1
	flat_load_dwordx2 v[34:35], v[22:23] glc
	v_and_b32_e32 v10, 64, v46
	v_cmp_eq_u32_e32 vcc, 0, v10
	s_andn2_b64 s[64:65], s[64:65], exec
	s_and_saveexec_b64 s[66:67], vcc
	s_cbranch_execz .LBB8_575
; %bb.577:                              ;   in Loop: Header=BB8_576 Depth=2
	v_add_u32_e32 v10, 1, v1
	v_cmp_lt_i32_e32 vcc, s81, v1
	s_mov_b64 s[70:71], -1
	s_and_saveexec_b64 s[68:69], vcc
	s_cbranch_execz .LBB8_574
; %bb.578:                              ;   in Loop: Header=BB8_576 Depth=2
	s_trap 2
	ds_read_b64 v[12:13], v0
	s_waitcnt vmcnt(0) lgkmcnt(0)
	flat_load_dword v1, v[12:13] glc
	s_waitcnt vmcnt(0) lgkmcnt(0)
	buffer_invl2
	buffer_wbinvl1_vol
	v_cmp_ne_u32_e32 vcc, 0, v1
	s_and_saveexec_b64 s[72:73], vcc
	s_cbranch_execz .LBB8_573
; %bb.579:                              ;   in Loop: Header=BB8_576 Depth=2
	v_or_b32_e32 v46, 64, v46
	s_xor_b64 s[70:71], exec, -1
	ds_write_b32 v0, v1
	s_trap 2
	s_branch .LBB8_573
.LBB8_580:                              ;   in Loop: Header=BB8_79 Depth=1
	s_or_b64 exec, exec, s[36:37]
	s_xor_b64 vcc, s[58:59], -1
	s_and_saveexec_b64 s[58:59], vcc
	s_cbranch_execz .LBB8_592
.LBB8_581:                              ;   in Loop: Header=BB8_79 Depth=1
	v_and_b32_e32 v1, 0x100, v46
	v_cmp_ne_u32_e32 vcc, 0, v1
	v_and_b32_e32 v1, 7, v8
	s_mov_b64 s[36:37], -1
                                        ; implicit-def: $vgpr2_vgpr3
	s_and_saveexec_b64 s[62:63], vcc
	s_cbranch_execz .LBB8_585
; %bb.582:                              ;   in Loop: Header=BB8_79 Depth=1
	v_mad_u64_u32 v[12:13], vcc, v1, 24, v[6:7]
	flat_load_dword v2, v[12:13]
	s_waitcnt vmcnt(0) lgkmcnt(0)
	v_cmp_ne_u32_e32 vcc, 1, v2
	v_cmp_eq_u32_e64 s[36:37], 1, v2
                                        ; implicit-def: $vgpr2_vgpr3
	s_and_saveexec_b64 s[64:65], s[36:37]
	s_cbranch_execz .LBB8_584
; %bb.583:                              ;   in Loop: Header=BB8_79 Depth=1
	flat_load_dword v2, v[12:13] offset:4 glc
	s_waitcnt vmcnt(0) lgkmcnt(0)
	v_ashrrev_i32_e32 v3, 31, v2
.LBB8_584:                              ;   in Loop: Header=BB8_79 Depth=1
	s_or_b64 exec, exec, s[64:65]
	s_orn2_b64 s[36:37], vcc, exec
.LBB8_585:                              ;   in Loop: Header=BB8_79 Depth=1
	s_or_b64 exec, exec, s[62:63]
	s_and_saveexec_b64 vcc, s[36:37]
; %bb.586:                              ;   in Loop: Header=BB8_79 Depth=1
	v_mad_i64_i32 v[2:3], s[36:37], v1, v52, 0
; %bb.587:                              ;   in Loop: Header=BB8_79 Depth=1
	s_or_b64 exec, exec, vcc
	v_add_co_u32_e32 v2, vcc, v32, v2
	v_addc_co_u32_e32 v3, vcc, v33, v3, vcc
	v_and_b32_e32 v1, 0x2000, v46
	v_cmp_ne_u32_e32 vcc, 0, v1
	ds_write_b64 v0, v[2:3] offset:720
	s_and_saveexec_b64 s[36:37], vcc
	s_cbranch_execz .LBB8_589
; %bb.588:                              ;   in Loop: Header=BB8_79 Depth=1
	ds_read_b64 v[2:3], v0 offset:584
	s_waitcnt lgkmcnt(0)
	v_add_co_u32_e32 v2, vcc, 1, v2
	v_addc_co_u32_e32 v3, vcc, 0, v3, vcc
	ds_write_b64 v0, v[2:3] offset:584
.LBB8_589:                              ;   in Loop: Header=BB8_79 Depth=1
	s_or_b64 exec, exec, s[36:37]
	v_add_co_u32_e32 v8, vcc, 1, v8
	v_addc_co_u32_e32 v9, vcc, 0, v9, vcc
	s_or_b64 exec, exec, s[58:59]
	s_and_saveexec_b64 s[36:37], s[14:15]
	s_cbranch_execz .LBB8_660
	s_branch .LBB8_593
.LBB8_590:                              ;   in Loop: Header=BB8_79 Depth=1
	s_or_b64 exec, exec, s[62:63]
	v_and_b32_e32 v1, 4, v46
.LBB8_591:                              ;   in Loop: Header=BB8_79 Depth=1
	s_or_b64 exec, exec, s[58:59]
	v_cmp_eq_u32_e32 vcc, 0, v1
	s_orn2_b64 s[58:59], vcc, exec
	;;#ASMSTART
	s_wakeup
	;;#ASMEND
	s_or_b64 exec, exec, s[36:37]
	s_xor_b64 vcc, s[58:59], -1
	s_and_saveexec_b64 s[58:59], vcc
	s_cbranch_execnz .LBB8_581
.LBB8_592:                              ;   in Loop: Header=BB8_79 Depth=1
	s_or_b64 exec, exec, s[58:59]
	s_and_saveexec_b64 s[36:37], s[14:15]
	s_cbranch_execz .LBB8_660
.LBB8_593:                              ;   in Loop: Header=BB8_79 Depth=1
	s_and_saveexec_b64 vcc, s[52:53]
	s_xor_b64 s[58:59], exec, vcc
	s_cbranch_execz .LBB8_657
; %bb.594:                              ;   in Loop: Header=BB8_79 Depth=1
	s_and_saveexec_b64 s[62:63], s[20:21]
	s_cbranch_execz .LBB8_656
; %bb.595:                              ;   in Loop: Header=BB8_79 Depth=1
	s_mov_b64 s[66:67], exec
	v_mbcnt_lo_u32_b32 v1, s66, 0
	v_mbcnt_hi_u32_b32 v1, s67, v1
	v_cmp_eq_u32_e32 vcc, 0, v1
	s_waitcnt vmcnt(0) lgkmcnt(0)
	buffer_wbinvl1_vol
	s_and_saveexec_b64 s[64:65], vcc
	s_cbranch_execz .LBB8_597
; %bb.596:                              ;   in Loop: Header=BB8_79 Depth=1
	s_bcnt1_i32_b64 vcc_lo, s[66:67]
	v_mov_b32_e32 v2, vcc_lo
	v_mov_b32_e32 v3, v36
	ds_add_u64 v0, v[2:3]
	s_trap 2
.LBB8_597:                              ;   in Loop: Header=BB8_79 Depth=1
	s_or_b64 exec, exec, s[64:65]
	s_trap 2
	ds_read_b64 v[2:3], v0
	v_add_co_u32_e32 v28, vcc, v28, v30
	v_addc_co_u32_e32 v29, vcc, 0, v29, vcc
	s_waitcnt lgkmcnt(0)
	v_cmp_lt_u64_e32 vcc, v[2:3], v[28:29]
	s_and_saveexec_b64 s[64:65], vcc
	s_cbranch_execz .LBB8_655
; %bb.598:                              ;   in Loop: Header=BB8_79 Depth=1
	s_mov_b32 s76, 0
	s_mov_b64 s[66:67], 0
                                        ; implicit-def: $sgpr68_sgpr69
                                        ; implicit-def: $sgpr70_sgpr71
	s_branch .LBB8_600
.LBB8_599:                              ;   in Loop: Header=BB8_600 Depth=2
	s_or_b64 exec, exec, s[74:75]
	s_and_b64 vcc, exec, vcc
	s_or_b64 s[66:67], vcc, s[66:67]
	s_andn2_b64 vcc, s[68:69], exec
	s_and_b64 s[68:69], s[70:71], exec
	s_or_b64 s[68:69], vcc, s[68:69]
	s_andn2_b64 exec, exec, s[66:67]
	s_cbranch_execz .LBB8_653
.LBB8_600:                              ;   Parent Loop BB8_79 Depth=1
                                        ; =>  This Inner Loop Header: Depth=2
	s_add_i32 s76, s76, 1
	s_cmpk_lg_i32 s76, 0x2710
	s_cselect_b64 s[72:73], -1, 0
	s_and_b64 vcc, exec, s[72:73]
                                        ; implicit-def: $sgpr74_sgpr75
	s_cbranch_vccnz .LBB8_602
; %bb.601:                              ;   in Loop: Header=BB8_600 Depth=2
	s_trap 2
	ds_read_b64 v[2:3], v0
	s_andn2_b64 s[72:73], s[72:73], exec
	s_mov_b32 s76, 0
	s_mov_b64 s[74:75], -1
	s_waitcnt lgkmcnt(0)
	flat_load_dword v1, v[2:3] glc
	s_waitcnt vmcnt(0) lgkmcnt(0)
	buffer_invl2
	buffer_wbinvl1_vol
	v_cmp_eq_u32_e32 vcc, 0, v1
	s_and_b64 vcc, vcc, exec
	s_or_b64 s[72:73], s[72:73], vcc
.LBB8_602:                              ;   in Loop: Header=BB8_600 Depth=2
	s_andn2_b64 s[70:71], s[70:71], exec
	s_and_b64 s[74:75], s[74:75], exec
	s_mov_b64 vcc, -1
	s_or_b64 s[70:71], s[70:71], s[74:75]
	s_and_saveexec_b64 s[74:75], s[72:73]
	s_cbranch_execz .LBB8_599
; %bb.603:                              ;   in Loop: Header=BB8_600 Depth=2
	s_sleep 1
	s_trap 2
	ds_read_b64 v[2:3], v0
	s_andn2_b64 s[70:71], s[70:71], exec
	s_waitcnt lgkmcnt(0)
	v_cmp_ge_u64_e32 vcc, v[2:3], v[28:29]
	s_orn2_b64 vcc, vcc, exec
	s_branch .LBB8_599
.LBB8_604:                              ;   in Loop: Header=BB8_79 Depth=1
	s_or_b64 exec, exec, s[66:67]
	s_and_saveexec_b64 vcc, s[68:69]
	s_xor_b64 vcc, exec, vcc
	s_cbranch_execz .LBB8_606
; %bb.605:                              ;   in Loop: Header=BB8_79 Depth=1
	ds_write_b32 v0, v58
	s_trap 2
.LBB8_606:                              ;   in Loop: Header=BB8_79 Depth=1
	s_or_b64 exec, exec, s[64:65]
	;;#ASMSTART
	s_wakeup
	;;#ASMEND
.LBB8_607:                              ;   in Loop: Header=BB8_79 Depth=1
	s_or_b64 exec, exec, s[42:43]
.LBB8_608:                              ;   in Loop: Header=BB8_79 Depth=1
	s_andn2_saveexec_b64 vcc, s[40:41]
	s_cbranch_execz .LBB8_610
; %bb.609:                              ;   in Loop: Header=BB8_79 Depth=1
	;;#ASMSTART
	s_waitcnt lgkmcnt(0) vmcnt(0)
	;;#ASMEND
	s_barrier
.LBB8_610:                              ;   in Loop: Header=BB8_79 Depth=1
	s_or_b64 exec, exec, vcc
	v_and_b32_e32 v1, 16, v46
.LBB8_611:                              ;   in Loop: Header=BB8_79 Depth=1
	s_or_b64 exec, exec, s[36:37]
	v_cmp_ne_u32_e32 vcc, 0, v1
	s_mov_b64 s[36:37], 0
	s_mov_b64 s[40:41], s[58:59]
	s_and_saveexec_b64 s[42:43], vcc
	s_xor_b64 vcc, exec, s[42:43]
; %bb.612:                              ;   in Loop: Header=BB8_79 Depth=1
	s_andn2_b64 s[36:37], s[58:59], exec
	s_and_b64 s[40:41], s[16:17], exec
	s_or_b64 s[40:41], s[36:37], s[40:41]
	s_and_b64 s[36:37], s[18:19], exec
; %bb.613:                              ;   in Loop: Header=BB8_79 Depth=1
	s_or_b64 exec, exec, vcc
	s_andn2_b64 vcc, s[58:59], exec
	s_and_b64 s[40:41], s[40:41], exec
	s_or_b64 s[40:41], vcc, s[40:41]
	s_and_b64 vcc, s[36:37], exec
.LBB8_614:                              ;   in Loop: Header=BB8_79 Depth=1
	s_or_b64 exec, exec, s[38:39]
	s_andn2_b64 s[36:37], s[58:59], exec
	s_and_b64 s[38:39], s[40:41], exec
	s_or_b64 s[36:37], s[36:37], s[38:39]
	s_and_b64 s[38:39], vcc, exec
                                        ; implicit-def: $vgpr42
                                        ; implicit-def: $vgpr53
                                        ; implicit-def: $vgpr2
                                        ; implicit-def: $vgpr3
.LBB8_615:                              ;   in Loop: Header=BB8_79 Depth=1
	s_andn2_saveexec_b64 s[40:41], s[62:63]
	s_cbranch_execz .LBB8_982
; %bb.616:                              ;   in Loop: Header=BB8_79 Depth=1
	v_mov_b32_e32 v1, 0
	s_and_saveexec_b64 s[42:43], s[34:35]
	s_cbranch_execz .LBB8_894
; %bb.617:                              ;   in Loop: Header=BB8_79 Depth=1
	s_and_saveexec_b64 s[34:35], s[4:5]
	s_cbranch_execz .LBB8_619
; %bb.618:                              ;   in Loop: Header=BB8_79 Depth=1
	s_trap 2
	ds_read_b64 v[12:13], v0
	v_mov_b32_e32 v37, v36
	ds_write_b64 v0, v[36:37]
	s_waitcnt lgkmcnt(0)
	v_add_co_u32_e32 v2, vcc, v12, v2
	v_addc_co_u32_e32 v3, vcc, v13, v3, vcc
	ds_write_b64 v0, v[2:3]
.LBB8_619:                              ;   in Loop: Header=BB8_79 Depth=1
	s_or_b64 exec, exec, s[34:35]
	v_and_b32_e32 v1, 8, v46
	v_cmp_ne_u32_e32 vcc, 0, v1
	s_mov_b64 s[62:63], -1
	s_and_saveexec_b64 s[34:35], vcc
	s_cbranch_execz .LBB8_631
; %bb.620:                              ;   in Loop: Header=BB8_79 Depth=1
	v_add_co_u32_e32 v12, vcc, 8, v34
	v_addc_co_u32_e32 v13, vcc, 0, v35, vcc
	v_add_co_u32_e32 v2, vcc, 1, v8
	v_addc_co_u32_e32 v3, vcc, 0, v9, vcc
	v_cmp_lt_u64_e32 vcc, v[12:13], v[2:3]
	v_mov_b32_e32 v1, 1
	s_and_saveexec_b64 s[62:63], vcc
	s_cbranch_execz .LBB8_630
; %bb.621:                              ;   in Loop: Header=BB8_79 Depth=1
	s_mov_b64 s[64:65], 0
	v_mov_b32_e32 v1, 0
                                        ; implicit-def: $sgpr66_sgpr67
	s_branch .LBB8_625
.LBB8_622:                              ;   in Loop: Header=BB8_625 Depth=2
	s_or_b64 exec, exec, s[74:75]
	v_mov_b32_e32 v10, 0
	s_orn2_b64 s[72:73], s[72:73], exec
.LBB8_623:                              ;   in Loop: Header=BB8_625 Depth=2
	s_or_b64 exec, exec, s[70:71]
	s_andn2_b64 vcc, s[66:67], exec
	s_and_b64 s[66:67], s[72:73], exec
	s_or_b64 s[66:67], vcc, s[66:67]
	v_mov_b32_e32 v1, v10
.LBB8_624:                              ;   in Loop: Header=BB8_625 Depth=2
	s_or_b64 exec, exec, s[68:69]
	s_waitcnt vmcnt(0) lgkmcnt(0)
	v_add_co_u32_e32 v12, vcc, 8, v34
	v_addc_co_u32_e32 v13, vcc, 0, v35, vcc
	v_cmp_ge_u64_e32 vcc, v[12:13], v[2:3]
	s_xor_b64 s[68:69], s[66:67], -1
	s_or_b64 vcc, s[68:69], vcc
	s_and_b64 vcc, exec, vcc
	s_or_b64 s[64:65], vcc, s[64:65]
	s_andn2_b64 exec, exec, s[64:65]
	s_cbranch_execz .LBB8_629
.LBB8_625:                              ;   Parent Loop BB8_79 Depth=1
                                        ; =>  This Inner Loop Header: Depth=2
	s_sleep 1
	flat_load_dwordx2 v[34:35], v[22:23] glc
	v_and_b32_e32 v10, 64, v46
	v_cmp_eq_u32_e32 vcc, 0, v10
	s_andn2_b64 s[66:67], s[66:67], exec
	s_and_saveexec_b64 s[68:69], vcc
	s_cbranch_execz .LBB8_624
; %bb.626:                              ;   in Loop: Header=BB8_625 Depth=2
	v_add_u32_e32 v10, 1, v1
	v_cmp_lt_i32_e32 vcc, s81, v1
	s_mov_b64 s[72:73], -1
	s_and_saveexec_b64 s[70:71], vcc
	s_cbranch_execz .LBB8_623
; %bb.627:                              ;   in Loop: Header=BB8_625 Depth=2
	s_trap 2
	ds_read_b64 v[12:13], v0
	s_waitcnt vmcnt(0) lgkmcnt(0)
	flat_load_dword v1, v[12:13] glc
	s_waitcnt vmcnt(0) lgkmcnt(0)
	buffer_invl2
	buffer_wbinvl1_vol
	v_cmp_ne_u32_e32 vcc, 0, v1
	s_and_saveexec_b64 s[74:75], vcc
	s_cbranch_execz .LBB8_622
; %bb.628:                              ;   in Loop: Header=BB8_625 Depth=2
	v_or_b32_e32 v46, 64, v46
	s_xor_b64 s[72:73], exec, -1
	ds_write_b32 v0, v1
	s_trap 2
	s_branch .LBB8_622
.LBB8_629:                              ;   in Loop: Header=BB8_79 Depth=1
	s_or_b64 exec, exec, s[64:65]
	v_and_b32_e32 v1, 8, v46
.LBB8_630:                              ;   in Loop: Header=BB8_79 Depth=1
	s_or_b64 exec, exec, s[62:63]
	v_cmp_eq_u32_e32 vcc, 0, v1
	s_orn2_b64 s[62:63], vcc, exec
	;;#ASMSTART
	s_wakeup
	;;#ASMEND
.LBB8_631:                              ;   in Loop: Header=BB8_79 Depth=1
	s_or_b64 exec, exec, s[34:35]
	s_xor_b64 vcc, s[62:63], -1
	v_min_i32_e32 v42, v42, v53
	s_and_saveexec_b64 s[62:63], vcc
	s_cbranch_execz .LBB8_641
; %bb.632:                              ;   in Loop: Header=BB8_79 Depth=1
	v_and_b32_e32 v1, 0x100, v46
	v_cmp_ne_u32_e32 vcc, 0, v1
	v_and_b32_e32 v1, 7, v8
	s_mov_b64 s[34:35], -1
                                        ; implicit-def: $vgpr2_vgpr3
	s_and_saveexec_b64 s[64:65], vcc
	s_cbranch_execz .LBB8_636
; %bb.633:                              ;   in Loop: Header=BB8_79 Depth=1
	v_mad_u64_u32 v[12:13], vcc, v1, 24, v[6:7]
	flat_load_dword v2, v[12:13]
	v_ashrrev_i32_e32 v43, 31, v42
	flat_store_dwordx2 v[12:13], v[42:43] offset:8
	s_waitcnt vmcnt(0) lgkmcnt(0)
	v_cmp_ne_u32_e32 vcc, 1, v2
	v_cmp_eq_u32_e64 s[34:35], 1, v2
                                        ; implicit-def: $vgpr2_vgpr3
	s_and_saveexec_b64 s[66:67], s[34:35]
	s_cbranch_execz .LBB8_635
; %bb.634:                              ;   in Loop: Header=BB8_79 Depth=1
	flat_load_dword v2, v[12:13] offset:4 glc
	s_waitcnt vmcnt(0) lgkmcnt(0)
	v_ashrrev_i32_e32 v3, 31, v2
.LBB8_635:                              ;   in Loop: Header=BB8_79 Depth=1
	s_or_b64 exec, exec, s[66:67]
	s_orn2_b64 s[34:35], vcc, exec
.LBB8_636:                              ;   in Loop: Header=BB8_79 Depth=1
	s_or_b64 exec, exec, s[64:65]
	s_and_saveexec_b64 vcc, s[34:35]
; %bb.637:                              ;   in Loop: Header=BB8_79 Depth=1
	v_mad_i64_i32 v[2:3], s[34:35], v1, v52, 0
; %bb.638:                              ;   in Loop: Header=BB8_79 Depth=1
	s_or_b64 exec, exec, vcc
	v_add_co_u32_e32 v2, vcc, v32, v2
	v_addc_co_u32_e32 v3, vcc, v33, v3, vcc
	v_and_b32_e32 v1, 0x2000, v46
	v_cmp_ne_u32_e32 vcc, 0, v1
	ds_write_b64 v0, v[2:3] offset:784
	s_and_saveexec_b64 s[34:35], vcc
	s_cbranch_execz .LBB8_640
; %bb.639:                              ;   in Loop: Header=BB8_79 Depth=1
	ds_read_b64 v[2:3], v0 offset:584
	s_waitcnt lgkmcnt(0)
	v_add_co_u32_e32 v2, vcc, 1, v2
	v_addc_co_u32_e32 v3, vcc, 0, v3, vcc
	ds_write_b64 v0, v[2:3] offset:584
.LBB8_640:                              ;   in Loop: Header=BB8_79 Depth=1
	s_or_b64 exec, exec, s[34:35]
	v_add_co_u32_e32 v8, vcc, 1, v8
	v_addc_co_u32_e32 v9, vcc, 0, v9, vcc
.LBB8_641:                              ;   in Loop: Header=BB8_79 Depth=1
	s_or_b64 exec, exec, s[62:63]
	s_and_saveexec_b64 s[34:35], s[14:15]
	s_cbranch_execz .LBB8_679
; %bb.642:                              ;   in Loop: Header=BB8_79 Depth=1
	s_and_saveexec_b64 vcc, s[52:53]
	s_xor_b64 s[62:63], exec, vcc
	s_cbranch_execz .LBB8_676
; %bb.643:                              ;   in Loop: Header=BB8_79 Depth=1
	s_and_saveexec_b64 s[64:65], s[20:21]
	s_cbranch_execz .LBB8_675
; %bb.644:                              ;   in Loop: Header=BB8_79 Depth=1
	s_mov_b64 s[68:69], exec
	v_mbcnt_lo_u32_b32 v1, s68, 0
	v_mbcnt_hi_u32_b32 v1, s69, v1
	v_cmp_eq_u32_e32 vcc, 0, v1
	s_waitcnt vmcnt(0) lgkmcnt(0)
	buffer_wbinvl1_vol
	s_and_saveexec_b64 s[66:67], vcc
	s_cbranch_execz .LBB8_646
; %bb.645:                              ;   in Loop: Header=BB8_79 Depth=1
	s_bcnt1_i32_b64 vcc_lo, s[68:69]
	v_mov_b32_e32 v2, vcc_lo
	v_mov_b32_e32 v3, v36
	ds_add_u64 v0, v[2:3]
	s_trap 2
.LBB8_646:                              ;   in Loop: Header=BB8_79 Depth=1
	s_or_b64 exec, exec, s[66:67]
	s_trap 2
	ds_read_b64 v[2:3], v0
	v_add_co_u32_e32 v28, vcc, v28, v30
	v_addc_co_u32_e32 v29, vcc, 0, v29, vcc
	s_waitcnt lgkmcnt(0)
	v_cmp_lt_u64_e32 vcc, v[2:3], v[28:29]
	s_and_saveexec_b64 s[66:67], vcc
	s_cbranch_execz .LBB8_674
; %bb.647:                              ;   in Loop: Header=BB8_79 Depth=1
	s_mov_b32 s78, 0
	s_mov_b64 s[68:69], 0
                                        ; implicit-def: $sgpr70_sgpr71
                                        ; implicit-def: $sgpr72_sgpr73
	s_branch .LBB8_649
.LBB8_648:                              ;   in Loop: Header=BB8_649 Depth=2
	s_or_b64 exec, exec, s[76:77]
	s_and_b64 vcc, exec, vcc
	s_or_b64 s[68:69], vcc, s[68:69]
	s_andn2_b64 vcc, s[70:71], exec
	s_and_b64 s[70:71], s[72:73], exec
	s_or_b64 s[70:71], vcc, s[70:71]
	s_andn2_b64 exec, exec, s[68:69]
	s_cbranch_execz .LBB8_672
.LBB8_649:                              ;   Parent Loop BB8_79 Depth=1
                                        ; =>  This Inner Loop Header: Depth=2
	s_add_i32 s78, s78, 1
	s_cmpk_lg_i32 s78, 0x2710
	s_cselect_b64 s[74:75], -1, 0
	s_and_b64 vcc, exec, s[74:75]
                                        ; implicit-def: $sgpr76_sgpr77
	s_cbranch_vccnz .LBB8_651
; %bb.650:                              ;   in Loop: Header=BB8_649 Depth=2
	s_trap 2
	ds_read_b64 v[2:3], v0
	s_andn2_b64 s[74:75], s[74:75], exec
	s_mov_b32 s78, 0
	s_mov_b64 s[76:77], -1
	s_waitcnt lgkmcnt(0)
	flat_load_dword v1, v[2:3] glc
	s_waitcnt vmcnt(0) lgkmcnt(0)
	buffer_invl2
	buffer_wbinvl1_vol
	v_cmp_eq_u32_e32 vcc, 0, v1
	s_and_b64 vcc, vcc, exec
	s_or_b64 s[74:75], s[74:75], vcc
.LBB8_651:                              ;   in Loop: Header=BB8_649 Depth=2
	s_andn2_b64 s[72:73], s[72:73], exec
	s_and_b64 s[76:77], s[76:77], exec
	s_mov_b64 vcc, -1
	s_or_b64 s[72:73], s[72:73], s[76:77]
	s_and_saveexec_b64 s[76:77], s[74:75]
	s_cbranch_execz .LBB8_648
; %bb.652:                              ;   in Loop: Header=BB8_649 Depth=2
	s_sleep 1
	s_trap 2
	ds_read_b64 v[2:3], v0
	s_andn2_b64 s[72:73], s[72:73], exec
	s_waitcnt lgkmcnt(0)
	v_cmp_ge_u64_e32 vcc, v[2:3], v[28:29]
	s_orn2_b64 vcc, vcc, exec
	s_branch .LBB8_648
.LBB8_653:                              ;   in Loop: Header=BB8_79 Depth=1
	s_or_b64 exec, exec, s[66:67]
	s_and_saveexec_b64 vcc, s[68:69]
	s_xor_b64 vcc, exec, vcc
	s_cbranch_execz .LBB8_655
; %bb.654:                              ;   in Loop: Header=BB8_79 Depth=1
	ds_write_b32 v0, v58
	s_trap 2
.LBB8_655:                              ;   in Loop: Header=BB8_79 Depth=1
	s_or_b64 exec, exec, s[64:65]
	;;#ASMSTART
	s_wakeup
	;;#ASMEND
.LBB8_656:                              ;   in Loop: Header=BB8_79 Depth=1
	s_or_b64 exec, exec, s[62:63]
.LBB8_657:                              ;   in Loop: Header=BB8_79 Depth=1
	s_andn2_saveexec_b64 vcc, s[58:59]
	s_cbranch_execz .LBB8_659
; %bb.658:                              ;   in Loop: Header=BB8_79 Depth=1
	s_waitcnt vmcnt(0) lgkmcnt(0)
	buffer_wbinvl1_vol
	s_barrier
.LBB8_659:                              ;   in Loop: Header=BB8_79 Depth=1
	s_or_b64 exec, exec, vcc
.LBB8_660:                              ;   in Loop: Header=BB8_79 Depth=1
	s_or_b64 exec, exec, s[36:37]
	s_trap 2
	ds_read_b32 v1, v0
	v_and_b32_e32 v2, 0x4000, v46
	v_cmp_ne_u32_e32 vcc, 0, v2
	s_xor_b64 s[36:37], s[12:13], -1
	s_and_b64 vcc, s[36:37], vcc
	s_and_saveexec_b64 s[36:37], vcc
	s_cbranch_execz .LBB8_698
; %bb.661:                              ;   in Loop: Header=BB8_79 Depth=1
	s_and_saveexec_b64 vcc, s[52:53]
	s_xor_b64 s[58:59], exec, vcc
	s_cbranch_execz .LBB8_695
; %bb.662:                              ;   in Loop: Header=BB8_79 Depth=1
	s_and_saveexec_b64 s[62:63], s[20:21]
	s_cbranch_execz .LBB8_694
; %bb.663:                              ;   in Loop: Header=BB8_79 Depth=1
	s_mov_b64 s[66:67], exec
	v_mbcnt_lo_u32_b32 v2, s66, 0
	v_mbcnt_hi_u32_b32 v2, s67, v2
	v_cmp_eq_u32_e32 vcc, 0, v2
	s_waitcnt vmcnt(0) lgkmcnt(0)
	buffer_wbinvl1_vol
	s_and_saveexec_b64 s[64:65], vcc
	s_cbranch_execz .LBB8_665
; %bb.664:                              ;   in Loop: Header=BB8_79 Depth=1
	s_bcnt1_i32_b64 vcc_lo, s[66:67]
	v_mov_b32_e32 v2, vcc_lo
	v_mov_b32_e32 v3, v36
	ds_add_u64 v0, v[2:3]
	s_trap 2
.LBB8_665:                              ;   in Loop: Header=BB8_79 Depth=1
	s_or_b64 exec, exec, s[64:65]
	s_trap 2
	ds_read_b64 v[2:3], v0
	v_add_co_u32_e32 v28, vcc, v28, v30
	v_addc_co_u32_e32 v29, vcc, 0, v29, vcc
	s_waitcnt lgkmcnt(0)
	v_cmp_lt_u64_e32 vcc, v[2:3], v[28:29]
	s_and_saveexec_b64 s[64:65], vcc
	s_cbranch_execz .LBB8_693
; %bb.666:                              ;   in Loop: Header=BB8_79 Depth=1
	s_mov_b32 s76, 0
	s_mov_b64 s[66:67], 0
                                        ; implicit-def: $sgpr68_sgpr69
                                        ; implicit-def: $sgpr70_sgpr71
	s_branch .LBB8_668
.LBB8_667:                              ;   in Loop: Header=BB8_668 Depth=2
	s_or_b64 exec, exec, s[74:75]
	s_and_b64 vcc, exec, vcc
	s_or_b64 s[66:67], vcc, s[66:67]
	s_andn2_b64 vcc, s[68:69], exec
	s_and_b64 s[68:69], s[70:71], exec
	s_or_b64 s[68:69], vcc, s[68:69]
	s_andn2_b64 exec, exec, s[66:67]
	s_cbranch_execz .LBB8_691
.LBB8_668:                              ;   Parent Loop BB8_79 Depth=1
                                        ; =>  This Inner Loop Header: Depth=2
	s_add_i32 s76, s76, 1
	s_cmpk_lg_i32 s76, 0x2710
	s_cselect_b64 s[72:73], -1, 0
	s_and_b64 vcc, exec, s[72:73]
                                        ; implicit-def: $sgpr74_sgpr75
	s_cbranch_vccnz .LBB8_670
; %bb.669:                              ;   in Loop: Header=BB8_668 Depth=2
	s_trap 2
	ds_read_b64 v[2:3], v0
	s_andn2_b64 s[72:73], s[72:73], exec
	s_mov_b32 s76, 0
	s_mov_b64 s[74:75], -1
	s_waitcnt lgkmcnt(0)
	flat_load_dword v2, v[2:3] glc
	s_waitcnt vmcnt(0) lgkmcnt(0)
	buffer_invl2
	buffer_wbinvl1_vol
	v_cmp_eq_u32_e32 vcc, 0, v2
	s_and_b64 vcc, vcc, exec
	s_or_b64 s[72:73], s[72:73], vcc
.LBB8_670:                              ;   in Loop: Header=BB8_668 Depth=2
	s_andn2_b64 s[70:71], s[70:71], exec
	s_and_b64 s[74:75], s[74:75], exec
	s_mov_b64 vcc, -1
	s_or_b64 s[70:71], s[70:71], s[74:75]
	s_and_saveexec_b64 s[74:75], s[72:73]
	s_cbranch_execz .LBB8_667
; %bb.671:                              ;   in Loop: Header=BB8_668 Depth=2
	s_sleep 1
	s_trap 2
	ds_read_b64 v[2:3], v0
	s_andn2_b64 s[70:71], s[70:71], exec
	s_waitcnt lgkmcnt(0)
	v_cmp_ge_u64_e32 vcc, v[2:3], v[28:29]
	s_orn2_b64 vcc, vcc, exec
	s_branch .LBB8_667
.LBB8_672:                              ;   in Loop: Header=BB8_79 Depth=1
	s_or_b64 exec, exec, s[68:69]
	s_and_saveexec_b64 vcc, s[70:71]
	s_xor_b64 vcc, exec, vcc
	s_cbranch_execz .LBB8_674
; %bb.673:                              ;   in Loop: Header=BB8_79 Depth=1
	ds_write_b32 v0, v58
	s_trap 2
.LBB8_674:                              ;   in Loop: Header=BB8_79 Depth=1
	s_or_b64 exec, exec, s[66:67]
	;;#ASMSTART
	s_wakeup
	;;#ASMEND
.LBB8_675:                              ;   in Loop: Header=BB8_79 Depth=1
	s_or_b64 exec, exec, s[64:65]
.LBB8_676:                              ;   in Loop: Header=BB8_79 Depth=1
	s_andn2_saveexec_b64 vcc, s[62:63]
	s_cbranch_execz .LBB8_678
; %bb.677:                              ;   in Loop: Header=BB8_79 Depth=1
	s_waitcnt vmcnt(0) lgkmcnt(0)
	buffer_wbinvl1_vol
	s_barrier
.LBB8_678:                              ;   in Loop: Header=BB8_79 Depth=1
	s_or_b64 exec, exec, vcc
.LBB8_679:                              ;   in Loop: Header=BB8_79 Depth=1
	s_or_b64 exec, exec, s[34:35]
	s_trap 2
	ds_read_b32 v1, v0
	v_and_b32_e32 v2, 0x4000, v46
	v_cmp_ne_u32_e32 vcc, 0, v2
	s_xor_b64 s[34:35], s[12:13], -1
	s_and_b64 vcc, s[34:35], vcc
	s_and_saveexec_b64 s[34:35], vcc
	s_cbranch_execz .LBB8_750
; %bb.680:                              ;   in Loop: Header=BB8_79 Depth=1
	s_and_saveexec_b64 vcc, s[52:53]
	s_xor_b64 s[62:63], exec, vcc
	s_cbranch_execz .LBB8_747
; %bb.681:                              ;   in Loop: Header=BB8_79 Depth=1
	s_and_saveexec_b64 s[64:65], s[20:21]
	s_cbranch_execz .LBB8_746
; %bb.682:                              ;   in Loop: Header=BB8_79 Depth=1
	s_mov_b64 s[68:69], exec
	v_mbcnt_lo_u32_b32 v2, s68, 0
	v_mbcnt_hi_u32_b32 v2, s69, v2
	v_cmp_eq_u32_e32 vcc, 0, v2
	s_waitcnt vmcnt(0) lgkmcnt(0)
	buffer_wbinvl1_vol
	s_and_saveexec_b64 s[66:67], vcc
	s_cbranch_execz .LBB8_684
; %bb.683:                              ;   in Loop: Header=BB8_79 Depth=1
	s_bcnt1_i32_b64 vcc_lo, s[68:69]
	v_mov_b32_e32 v2, vcc_lo
	v_mov_b32_e32 v3, v36
	ds_add_u64 v0, v[2:3]
	s_trap 2
.LBB8_684:                              ;   in Loop: Header=BB8_79 Depth=1
	s_or_b64 exec, exec, s[66:67]
	s_trap 2
	ds_read_b64 v[2:3], v0
	v_add_co_u32_e32 v28, vcc, v28, v30
	v_addc_co_u32_e32 v29, vcc, 0, v29, vcc
	s_waitcnt lgkmcnt(0)
	v_cmp_lt_u64_e32 vcc, v[2:3], v[28:29]
	s_and_saveexec_b64 s[66:67], vcc
	s_cbranch_execz .LBB8_745
; %bb.685:                              ;   in Loop: Header=BB8_79 Depth=1
	s_mov_b32 s78, 0
	s_mov_b64 s[68:69], 0
                                        ; implicit-def: $sgpr70_sgpr71
                                        ; implicit-def: $sgpr72_sgpr73
	s_branch .LBB8_687
.LBB8_686:                              ;   in Loop: Header=BB8_687 Depth=2
	s_or_b64 exec, exec, s[76:77]
	s_and_b64 vcc, exec, vcc
	s_or_b64 s[68:69], vcc, s[68:69]
	s_andn2_b64 vcc, s[70:71], exec
	s_and_b64 s[70:71], s[72:73], exec
	s_or_b64 s[70:71], vcc, s[70:71]
	s_andn2_b64 exec, exec, s[68:69]
	s_cbranch_execz .LBB8_743
.LBB8_687:                              ;   Parent Loop BB8_79 Depth=1
                                        ; =>  This Inner Loop Header: Depth=2
	s_add_i32 s78, s78, 1
	s_cmpk_lg_i32 s78, 0x2710
	s_cselect_b64 s[74:75], -1, 0
	s_and_b64 vcc, exec, s[74:75]
                                        ; implicit-def: $sgpr76_sgpr77
	s_cbranch_vccnz .LBB8_689
; %bb.688:                              ;   in Loop: Header=BB8_687 Depth=2
	s_trap 2
	ds_read_b64 v[2:3], v0
	s_andn2_b64 s[74:75], s[74:75], exec
	s_mov_b32 s78, 0
	s_mov_b64 s[76:77], -1
	s_waitcnt lgkmcnt(0)
	flat_load_dword v2, v[2:3] glc
	s_waitcnt vmcnt(0) lgkmcnt(0)
	buffer_invl2
	buffer_wbinvl1_vol
	v_cmp_eq_u32_e32 vcc, 0, v2
	s_and_b64 vcc, vcc, exec
	s_or_b64 s[74:75], s[74:75], vcc
.LBB8_689:                              ;   in Loop: Header=BB8_687 Depth=2
	s_andn2_b64 s[72:73], s[72:73], exec
	s_and_b64 s[76:77], s[76:77], exec
	s_mov_b64 vcc, -1
	s_or_b64 s[72:73], s[72:73], s[76:77]
	s_and_saveexec_b64 s[76:77], s[74:75]
	s_cbranch_execz .LBB8_686
; %bb.690:                              ;   in Loop: Header=BB8_687 Depth=2
	s_sleep 1
	s_trap 2
	ds_read_b64 v[2:3], v0
	s_andn2_b64 s[72:73], s[72:73], exec
	s_waitcnt lgkmcnt(0)
	v_cmp_ge_u64_e32 vcc, v[2:3], v[28:29]
	s_orn2_b64 vcc, vcc, exec
	s_branch .LBB8_686
.LBB8_691:                              ;   in Loop: Header=BB8_79 Depth=1
	s_or_b64 exec, exec, s[66:67]
	s_and_saveexec_b64 vcc, s[68:69]
	s_xor_b64 vcc, exec, vcc
	s_cbranch_execz .LBB8_693
; %bb.692:                              ;   in Loop: Header=BB8_79 Depth=1
	ds_write_b32 v0, v58
	s_trap 2
.LBB8_693:                              ;   in Loop: Header=BB8_79 Depth=1
	s_or_b64 exec, exec, s[64:65]
	;;#ASMSTART
	s_wakeup
	;;#ASMEND
.LBB8_694:                              ;   in Loop: Header=BB8_79 Depth=1
	s_or_b64 exec, exec, s[62:63]
.LBB8_695:                              ;   in Loop: Header=BB8_79 Depth=1
	s_andn2_saveexec_b64 vcc, s[58:59]
	s_cbranch_execz .LBB8_697
; %bb.696:                              ;   in Loop: Header=BB8_79 Depth=1
	s_waitcnt vmcnt(0) lgkmcnt(0)
	buffer_wbinvl1_vol
	s_barrier
.LBB8_697:                              ;   in Loop: Header=BB8_79 Depth=1
	s_or_b64 exec, exec, vcc
.LBB8_698:                              ;   in Loop: Header=BB8_79 Depth=1
	s_or_b64 exec, exec, s[36:37]
	s_trap 2
	ds_read_b64 v[2:3], v0
	v_min_i32_e32 v42, v42, v53
	s_mov_b64 s[36:37], 0
	s_waitcnt lgkmcnt(0)
	v_readfirstlane_b32 vcc_lo, v2
	v_readfirstlane_b32 vcc_hi, v3
	s_cmp_eq_u64 vcc, 0
	s_cselect_b64 vcc, -1, 0
	s_or_b64 vcc, vcc, vcc
	s_and_b64 vcc, exec, vcc
	s_cbranch_vccnz .LBB8_731
; %bb.699:                              ;   in Loop: Header=BB8_79 Depth=1
	s_mov_b64 s[36:37], -1
	s_and_saveexec_b64 s[58:59], s[22:23]
	s_cbranch_execz .LBB8_701
; %bb.700:                              ;   in Loop: Header=BB8_79 Depth=1
	ds_read_b32 v2, v0 offset:720
	s_waitcnt lgkmcnt(0)
	v_and_b32_e32 v2, 15, v2
	v_cmp_eq_u32_e32 vcc, 0, v2
	s_orn2_b64 s[36:37], vcc, exec
.LBB8_701:                              ;   in Loop: Header=BB8_79 Depth=1
	s_or_b64 exec, exec, s[58:59]
	s_and_saveexec_b64 s[58:59], s[26:27]
	s_cbranch_execz .LBB8_703
; %bb.702:                              ;   in Loop: Header=BB8_79 Depth=1
	ds_read_b32 v2, v0 offset:784
	s_waitcnt lgkmcnt(0)
	v_and_b32_e32 v2, 15, v2
	v_cmp_eq_u32_e32 vcc, 0, v2
	s_and_b64 vcc, s[36:37], vcc
	s_andn2_b64 s[36:37], s[36:37], exec
	s_and_b64 vcc, vcc, exec
	s_or_b64 s[36:37], s[36:37], vcc
.LBB8_703:                              ;   in Loop: Header=BB8_79 Depth=1
	s_or_b64 exec, exec, s[58:59]
	v_cmp_eq_u32_e32 vcc, 0, v1
	v_cndmask_b32_e32 v14, 0, v42, vcc
	s_xor_b64 vcc, s[36:37], -1
	v_cndmask_b32_e64 v1, 0, 1, vcc
	;;#ASMSTART
	;;#ASMEND
	v_mov_b32_e32 v15, 0
	s_mov_b64 s[62:63], -1
	v_cmp_ne_u32_e32 vcc, 0, v1
	v_mov_b32_e32 v25, v14
	v_mov_b32_e32 v37, v0
	;; [unrolled: 1-line block ×3, first 2 shown]
	s_cbranch_vccnz .LBB8_717
; %bb.704:                              ;   in Loop: Header=BB8_79 Depth=1
	v_ashrrev_i32_e32 v1, 31, v14
	v_lshrrev_b32_e32 v1, 21, v1
	v_add_u32_e32 v1, v14, v1
	v_ashrrev_i32_e32 v1, 11, v1
	v_sub_u32_e32 v10, v1, v57
	v_cmp_lt_i32_e32 vcc, 0, v10
	s_and_saveexec_b64 s[36:37], vcc
	s_cbranch_execz .LBB8_708
; %bb.705:                              ;   in Loop: Header=BB8_79 Depth=1
	s_trap 2
	ds_read_b64 v[2:3], v0
	v_accvgpr_read_b32 v12, a20
	s_mov_b64 s[58:59], 0
	v_accvgpr_read_b32 v13, a21
.LBB8_706:                              ;   Parent Loop BB8_79 Depth=1
                                        ; =>  This Inner Loop Header: Depth=2
	s_waitcnt lgkmcnt(0)
	v_add_co_u32_e32 v54, vcc, v2, v12
	v_addc_co_u32_e32 v55, vcc, v3, v13, vcc
	global_load_dwordx4 v[24:27], v[54:55], off glc slc
	global_load_dwordx4 v[48:51], v[54:55], off offset:1024 glc slc
	v_add_co_u32_e32 v12, vcc, v12, v59
	v_sub_u32_e32 v10, v10, v30
	v_addc_co_u32_e32 v13, vcc, v13, v60, vcc
	v_cmp_gt_i32_e32 vcc, 1, v10
	s_or_b64 s[58:59], vcc, s[58:59]
	s_waitcnt vmcnt(0)
	global_store_dwordx4 v[54:55], v[24:27], off glc slc
	global_store_dwordx4 v[54:55], v[48:51], off offset:1024 glc slc
	s_andn2_b64 exec, exec, s[58:59]
	s_cbranch_execnz .LBB8_706
; %bb.707:                              ;   in Loop: Header=BB8_79 Depth=1
	s_or_b64 exec, exec, s[58:59]
	v_accvgpr_read_b32 v55, a17
	v_accvgpr_read_b32 v48, a14
	;; [unrolled: 1-line block ×4, first 2 shown]
.LBB8_708:                              ;   in Loop: Header=BB8_79 Depth=1
	s_or_b64 exec, exec, s[36:37]
	v_lshlrev_b32_e32 v12, 11, v1
	v_cmp_ne_u32_e32 vcc, v14, v12
	s_mov_b64 s[62:63], 0
	v_mov_b32_e32 v15, 0
                                        ; implicit-def: $vgpr25
                                        ; implicit-def: $vgpr37
                                        ; implicit-def: $vgpr1
	s_and_saveexec_b64 s[58:59], vcc
	s_cbranch_execz .LBB8_716
; %bb.709:                              ;   in Loop: Header=BB8_79 Depth=1
	v_lshlrev_b32_e32 v1, 6, v10
	v_accvgpr_read_b32 v3, a18
	v_sub_u32_e32 v1, v3, v1
	v_ashrrev_i32_e32 v3, 31, v1
	v_lshrrev_b32_e32 v3, 26, v3
	v_add_u32_e32 v3, v1, v3
	v_sub_u32_e32 v2, v14, v12
	v_ashrrev_i32_e32 v10, 6, v3
	v_and_b32_e32 v3, 0xffffffc0, v3
	v_sub_u32_e32 v13, v1, v3
	v_ashrrev_i32_e32 v3, 31, v2
	v_lshrrev_b32_e32 v3, 22, v3
	v_add_u32_e32 v3, v2, v3
	v_and_b32_e32 v49, 0xfffffc00, v3
	v_lshlrev_b32_e32 v1, 4, v13
	v_sub_u32_e32 v41, v2, v49
	v_lshl_add_u32 v1, v10, 10, v1
	v_ashrrev_i32_e32 v11, 10, v3
	v_cmp_lt_i32_e32 vcc, 15, v41
	v_sub_u32_e32 v15, v2, v1
	v_addc_co_u32_e64 v2, s[36:37], 0, v11, vcc
	v_sub_u32_e32 v40, v2, v10
	v_cmp_lt_i32_e64 s[36:37], 15, v15
	s_and_saveexec_b64 s[62:63], s[36:37]
	s_cbranch_execz .LBB8_713
; %bb.710:                              ;   in Loop: Header=BB8_79 Depth=1
	s_trap 2
	ds_read_b64 v[2:3], v0
	v_add_u32_e32 v10, v1, v12
	v_ashrrev_i32_e32 v1, 31, v10
	s_mov_b64 s[64:65], 0
.LBB8_711:                              ;   Parent Loop BB8_79 Depth=1
                                        ; =>  This Inner Loop Header: Depth=2
	s_waitcnt lgkmcnt(0)
	v_add_co_u32_e64 v50, s[36:37], v2, v10
	v_addc_co_u32_e64 v51, s[36:37], v3, v1, s[36:37]
	global_load_dwordx4 v[24:27], v[50:51], off glc slc
	v_add_co_u32_e64 v10, s[36:37], v10, v18
	v_sub_u32_e32 v15, v15, v31
	v_addc_co_u32_e64 v1, s[36:37], v1, v19, s[36:37]
	v_cmp_gt_i32_e64 s[36:37], 16, v15
	v_sub_u32_e32 v40, v40, v30
	s_or_b64 s[64:65], s[36:37], s[64:65]
	s_waitcnt vmcnt(0)
	global_store_dwordx4 v[50:51], v[24:27], off glc slc
	s_andn2_b64 exec, exec, s[64:65]
	s_cbranch_execnz .LBB8_711
; %bb.712:                              ;   in Loop: Header=BB8_79 Depth=1
	s_or_b64 exec, exec, s[64:65]
	v_accvgpr_read_b32 v48, a14
	v_accvgpr_read_b32 v51, a13
.LBB8_713:                              ;   in Loop: Header=BB8_79 Depth=1
	s_or_b64 exec, exec, s[62:63]
	v_and_b32_e32 v2, 15, v14
	v_cndmask_b32_e32 v25, v41, v2, vcc
	v_cmp_ne_u32_e64 s[36:37], 0, v25
	s_mov_b64 s[62:63], 0
	v_mov_b32_e32 v15, 0
                                        ; implicit-def: $vgpr37
                                        ; implicit-def: $vgpr1
	s_and_saveexec_b64 s[64:65], s[36:37]
	s_cbranch_execz .LBB8_715
; %bb.714:                              ;   in Loop: Header=BB8_79 Depth=1
	v_sub_u32_e32 v1, v41, v2
	v_cndmask_b32_e32 v1, 0, v1, vcc
	v_cmp_lt_i32_e32 vcc, 0, v40
	v_add3_u32 v15, v49, v12, v1
	v_cndmask_b32_e32 v1, 0, v30, vcc
	v_sub_u32_e32 v1, v1, v40
	v_lshl_add_u32 v37, v1, 6, v13
	v_ashrrev_i32_e32 v1, 31, v37
	v_lshrrev_b32_e32 v1, 26, v1
	v_add_u32_e32 v1, v37, v1
	s_mov_b64 s[62:63], exec
	v_ashrrev_i32_e32 v1, 6, v1
.LBB8_715:                              ;   in Loop: Header=BB8_79 Depth=1
	s_or_b64 exec, exec, s[64:65]
	s_and_b64 s[62:63], s[62:63], exec
.LBB8_716:                              ;   in Loop: Header=BB8_79 Depth=1
	s_or_b64 exec, exec, s[58:59]
.LBB8_717:                              ;   in Loop: Header=BB8_79 Depth=1
	s_and_saveexec_b64 s[36:37], s[62:63]
	s_cbranch_execz .LBB8_726
; %bb.718:                              ;   in Loop: Header=BB8_79 Depth=1
	v_ashrrev_i32_e32 v2, 31, v25
	v_lshrrev_b32_e32 v2, 22, v2
	v_add_u32_e32 v2, v25, v2
	v_ashrrev_i32_e32 v41, 10, v2
	v_sub_u32_e32 v49, v41, v1
	v_ashrrev_i32_e32 v2, 31, v37
	v_cmp_lt_i32_e32 vcc, 0, v49
	v_lshrrev_b32_e32 v40, 26, v2
	s_and_saveexec_b64 s[58:59], vcc
	s_cbranch_execz .LBB8_722
; %bb.719:                              ;   in Loop: Header=BB8_79 Depth=1
	s_trap 2
	ds_read_b64 v[2:3], v0
	v_add_u32_e32 v10, v37, v40
	v_and_b32_e32 v10, 0xffffffc0, v10
	v_sub_u32_e32 v10, v37, v10
	v_lshlrev_b32_e32 v1, 10, v1
	v_add3_u32 v10, v15, v10, v1
	v_accvgpr_write_b32 a10, v36
	v_ashrrev_i32_e32 v1, 31, v10
	s_mov_b64 s[62:63], 0
	s_waitcnt lgkmcnt(0)
	v_pk_mov_b32 v[12:13], v[2:3], v[2:3] op_sel:[0,1]
.LBB8_720:                              ;   Parent Loop BB8_79 Depth=1
                                        ; =>  This Inner Loop Header: Depth=2
	v_add_co_u32_e32 v26, vcc, v10, v12
	v_addc_co_u32_e32 v27, vcc, v1, v13, vcc
	flat_load_ubyte v11, v[26:27] glc slc
	flat_load_ubyte v24, v[26:27] offset:64 glc slc
	flat_load_ubyte v31, v[26:27] offset:128 glc slc
	flat_load_ubyte v36, v[26:27] offset:192 glc slc
	flat_load_ubyte v48, v[26:27] offset:256 glc slc
	flat_load_ubyte v50, v[26:27] offset:320 glc slc
	flat_load_ubyte v51, v[26:27] offset:384 glc slc
	flat_load_ubyte v52, v[26:27] offset:448 glc slc
	flat_load_ubyte v54, v[26:27] offset:512 glc slc
	flat_load_ubyte v55, v[26:27] offset:576 glc slc
	flat_load_ubyte v43, v[26:27] offset:640 glc slc
	flat_load_ubyte v44, v[26:27] offset:704 glc slc
	flat_load_ubyte v45, v[26:27] offset:768 glc slc
	flat_load_ubyte v56, v[26:27] offset:832 glc slc
	flat_load_ubyte v57, v[26:27] offset:896 glc slc
	flat_load_ubyte v58, v[26:27] offset:960 glc slc
	v_add_co_u32_e32 v26, vcc, v10, v2
	v_addc_co_u32_e32 v27, vcc, v1, v3, vcc
	v_add_co_u32_e32 v12, vcc, v12, v18
	v_addc_co_u32_e32 v13, vcc, v13, v19, vcc
	v_add_co_u32_e32 v2, vcc, v2, v18
	v_sub_u32_e32 v49, v49, v30
	v_addc_co_u32_e32 v3, vcc, v3, v19, vcc
	v_cmp_gt_i32_e32 vcc, 1, v49
	s_or_b64 s[62:63], vcc, s[62:63]
	s_waitcnt vmcnt(0) lgkmcnt(0)
	flat_store_byte v[26:27], v11 glc slc
	flat_store_byte v[26:27], v24 offset:64 glc slc
	flat_store_byte v[26:27], v31 offset:128 glc slc
	;; [unrolled: 1-line block ×15, first 2 shown]
	s_andn2_b64 exec, exec, s[62:63]
	s_cbranch_execnz .LBB8_720
; %bb.721:                              ;   in Loop: Header=BB8_79 Depth=1
	s_or_b64 exec, exec, s[62:63]
	v_accvgpr_read_b32 v45, a9
	v_accvgpr_read_b32 v55, a17
	;; [unrolled: 1-line block ×5, first 2 shown]
	v_mov_b32_e32 v58, 1
	v_accvgpr_read_b32 v31, a11
	v_accvgpr_read_b32 v56, a12
	;; [unrolled: 1-line block ×6, first 2 shown]
.LBB8_722:                              ;   in Loop: Header=BB8_79 Depth=1
	s_or_b64 exec, exec, s[58:59]
	v_lshlrev_b32_e32 v1, 10, v41
	v_cmp_ne_u32_e32 vcc, v25, v1
	s_and_b64 exec, exec, vcc
	s_cbranch_execz .LBB8_726
; %bb.723:                              ;   in Loop: Header=BB8_79 Depth=1
	v_add_u32_e32 v2, v37, v40
	v_and_b32_e32 v2, 0xffffffc0, v2
	v_sub_u32_e32 v2, v37, v2
	v_lshlrev_b32_e32 v3, 6, v49
	v_sub_u32_e32 v2, v2, v3
	v_add_u32_e32 v1, v1, v2
	v_sub_u32_e32 v12, v25, v1
	v_cmp_lt_i32_e32 vcc, 0, v12
	s_and_b64 exec, exec, vcc
	s_cbranch_execz .LBB8_726
; %bb.724:                              ;   in Loop: Header=BB8_79 Depth=1
	s_trap 2
	ds_read_b64 v[2:3], v0
	v_add_u32_e32 v10, v1, v15
	v_ashrrev_i32_e32 v1, 31, v10
	s_mov_b64 s[58:59], 0
.LBB8_725:                              ;   Parent Loop BB8_79 Depth=1
                                        ; =>  This Inner Loop Header: Depth=2
	s_waitcnt lgkmcnt(0)
	v_add_co_u32_e32 v24, vcc, v2, v10
	v_addc_co_u32_e32 v25, vcc, v3, v1, vcc
	flat_load_ubyte v11, v[24:25] glc slc
	v_add_co_u32_e32 v10, vcc, v10, v61
	v_sub_u32_e32 v12, v12, v47
	v_addc_co_u32_e32 v1, vcc, v1, v62, vcc
	v_cmp_gt_i32_e32 vcc, 1, v12
	s_or_b64 s[58:59], vcc, s[58:59]
	s_waitcnt vmcnt(0) lgkmcnt(0)
	flat_store_byte v[24:25], v11 glc slc
	s_andn2_b64 exec, exec, s[58:59]
	s_cbranch_execnz .LBB8_725
.LBB8_726:                              ;   in Loop: Header=BB8_79 Depth=1
	s_or_b64 exec, exec, s[36:37]
	v_cmp_lt_i32_e64 s[36:37], 0, v14
	s_and_saveexec_b64 s[58:59], s[14:15]
	s_cbranch_execnz .LBB8_732
.LBB8_727:                              ;   in Loop: Header=BB8_79 Depth=1
	s_or_b64 exec, exec, s[58:59]
	s_and_saveexec_b64 vcc, s[28:29]
	s_xor_b64 s[58:59], exec, vcc
	s_cbranch_execz .LBB8_803
.LBB8_728:                              ;   in Loop: Header=BB8_79 Depth=1
	v_and_b32_e32 v1, 16, v46
	v_cmp_ne_u32_e32 vcc, 0, v1
	s_and_b64 s[36:37], vcc, s[36:37]
	s_and_saveexec_b64 vcc, s[36:37]
	s_cbranch_execz .LBB8_730
; %bb.729:                              ;   in Loop: Header=BB8_79 Depth=1
	s_waitcnt vmcnt(0) lgkmcnt(0)
	buffer_wbinvl1_vol
.LBB8_730:                              ;   in Loop: Header=BB8_79 Depth=1
	s_or_b64 exec, exec, vcc
	s_andn2_saveexec_b64 s[36:37], s[58:59]
	s_cbranch_execz .LBB8_841
	s_branch .LBB8_804
.LBB8_731:                              ;   in Loop: Header=BB8_79 Depth=1
	s_and_saveexec_b64 s[58:59], s[14:15]
	s_cbranch_execz .LBB8_727
.LBB8_732:                              ;   in Loop: Header=BB8_79 Depth=1
	s_and_saveexec_b64 vcc, s[52:53]
	s_xor_b64 s[62:63], exec, vcc
	s_cbranch_execz .LBB8_800
; %bb.733:                              ;   in Loop: Header=BB8_79 Depth=1
	s_and_saveexec_b64 s[64:65], s[20:21]
	s_cbranch_execz .LBB8_799
; %bb.734:                              ;   in Loop: Header=BB8_79 Depth=1
	s_mov_b64 s[68:69], exec
	v_mbcnt_lo_u32_b32 v1, s68, 0
	v_mbcnt_hi_u32_b32 v1, s69, v1
	v_cmp_eq_u32_e32 vcc, 0, v1
	s_waitcnt vmcnt(0) lgkmcnt(0)
	buffer_wbinvl1_vol
	s_and_saveexec_b64 s[66:67], vcc
	s_cbranch_execz .LBB8_736
; %bb.735:                              ;   in Loop: Header=BB8_79 Depth=1
	s_bcnt1_i32_b64 vcc_lo, s[68:69]
	v_mov_b32_e32 v2, vcc_lo
	v_mov_b32_e32 v3, v36
	ds_add_u64 v0, v[2:3]
	s_trap 2
.LBB8_736:                              ;   in Loop: Header=BB8_79 Depth=1
	s_or_b64 exec, exec, s[66:67]
	s_trap 2
	ds_read_b64 v[2:3], v0
	v_add_co_u32_e32 v28, vcc, v28, v30
	v_addc_co_u32_e32 v29, vcc, 0, v29, vcc
	s_waitcnt lgkmcnt(0)
	v_cmp_lt_u64_e32 vcc, v[2:3], v[28:29]
	s_and_saveexec_b64 s[66:67], vcc
	s_cbranch_execz .LBB8_798
; %bb.737:                              ;   in Loop: Header=BB8_79 Depth=1
	s_mov_b32 s78, 0
	s_mov_b64 s[68:69], 0
                                        ; implicit-def: $sgpr70_sgpr71
                                        ; implicit-def: $sgpr72_sgpr73
	s_branch .LBB8_739
.LBB8_738:                              ;   in Loop: Header=BB8_739 Depth=2
	s_or_b64 exec, exec, s[76:77]
	s_and_b64 vcc, exec, vcc
	s_or_b64 s[68:69], vcc, s[68:69]
	s_andn2_b64 vcc, s[70:71], exec
	s_and_b64 s[70:71], s[72:73], exec
	s_or_b64 s[70:71], vcc, s[70:71]
	s_andn2_b64 exec, exec, s[68:69]
	s_cbranch_execz .LBB8_796
.LBB8_739:                              ;   Parent Loop BB8_79 Depth=1
                                        ; =>  This Inner Loop Header: Depth=2
	s_add_i32 s78, s78, 1
	s_cmpk_lg_i32 s78, 0x2710
	s_cselect_b64 s[74:75], -1, 0
	s_and_b64 vcc, exec, s[74:75]
                                        ; implicit-def: $sgpr76_sgpr77
	s_cbranch_vccnz .LBB8_741
; %bb.740:                              ;   in Loop: Header=BB8_739 Depth=2
	s_trap 2
	ds_read_b64 v[2:3], v0
	s_andn2_b64 s[74:75], s[74:75], exec
	s_mov_b32 s78, 0
	s_mov_b64 s[76:77], -1
	s_waitcnt lgkmcnt(0)
	flat_load_dword v1, v[2:3] glc
	s_waitcnt vmcnt(0) lgkmcnt(0)
	buffer_invl2
	buffer_wbinvl1_vol
	v_cmp_eq_u32_e32 vcc, 0, v1
	s_and_b64 vcc, vcc, exec
	s_or_b64 s[74:75], s[74:75], vcc
.LBB8_741:                              ;   in Loop: Header=BB8_739 Depth=2
	s_andn2_b64 s[72:73], s[72:73], exec
	s_and_b64 s[76:77], s[76:77], exec
	s_mov_b64 vcc, -1
	s_or_b64 s[72:73], s[72:73], s[76:77]
	s_and_saveexec_b64 s[76:77], s[74:75]
	s_cbranch_execz .LBB8_738
; %bb.742:                              ;   in Loop: Header=BB8_739 Depth=2
	s_sleep 1
	s_trap 2
	ds_read_b64 v[2:3], v0
	s_andn2_b64 s[72:73], s[72:73], exec
	s_waitcnt lgkmcnt(0)
	v_cmp_ge_u64_e32 vcc, v[2:3], v[28:29]
	s_orn2_b64 vcc, vcc, exec
	s_branch .LBB8_738
.LBB8_743:                              ;   in Loop: Header=BB8_79 Depth=1
	s_or_b64 exec, exec, s[68:69]
	s_and_saveexec_b64 vcc, s[70:71]
	s_xor_b64 vcc, exec, vcc
	s_cbranch_execz .LBB8_745
; %bb.744:                              ;   in Loop: Header=BB8_79 Depth=1
	ds_write_b32 v0, v58
	s_trap 2
.LBB8_745:                              ;   in Loop: Header=BB8_79 Depth=1
	s_or_b64 exec, exec, s[66:67]
	;;#ASMSTART
	s_wakeup
	;;#ASMEND
.LBB8_746:                              ;   in Loop: Header=BB8_79 Depth=1
	s_or_b64 exec, exec, s[64:65]
.LBB8_747:                              ;   in Loop: Header=BB8_79 Depth=1
	s_andn2_saveexec_b64 vcc, s[62:63]
	s_cbranch_execz .LBB8_749
; %bb.748:                              ;   in Loop: Header=BB8_79 Depth=1
	s_waitcnt vmcnt(0) lgkmcnt(0)
	buffer_wbinvl1_vol
	s_barrier
.LBB8_749:                              ;   in Loop: Header=BB8_79 Depth=1
	s_or_b64 exec, exec, vcc
.LBB8_750:                              ;   in Loop: Header=BB8_79 Depth=1
	s_or_b64 exec, exec, s[34:35]
	s_trap 2
	ds_read_b64 v[2:3], v0
	s_mov_b64 s[34:35], 0
	s_waitcnt lgkmcnt(0)
	v_readfirstlane_b32 vcc_lo, v2
	v_readfirstlane_b32 vcc_hi, v3
	s_cmp_eq_u64 vcc, 0
	s_cselect_b64 vcc, -1, 0
	s_or_b64 vcc, vcc, vcc
	s_and_b64 vcc, exec, vcc
	s_cbranch_vccnz .LBB8_784
; %bb.751:                              ;   in Loop: Header=BB8_79 Depth=1
	s_mov_b64 s[34:35], -1
	s_and_saveexec_b64 s[62:63], s[26:27]
	s_cbranch_execz .LBB8_753
; %bb.752:                              ;   in Loop: Header=BB8_79 Depth=1
	ds_read_b32 v2, v0 offset:720
	s_waitcnt lgkmcnt(0)
	v_and_b32_e32 v2, 15, v2
	v_cmp_eq_u32_e32 vcc, 0, v2
	s_orn2_b64 s[34:35], vcc, exec
.LBB8_753:                              ;   in Loop: Header=BB8_79 Depth=1
	s_or_b64 exec, exec, s[62:63]
	s_and_saveexec_b64 s[62:63], s[22:23]
	s_cbranch_execz .LBB8_755
; %bb.754:                              ;   in Loop: Header=BB8_79 Depth=1
	ds_read_b32 v2, v0 offset:784
	s_waitcnt lgkmcnt(0)
	v_and_b32_e32 v2, 15, v2
	v_cmp_eq_u32_e32 vcc, 0, v2
	s_and_b64 vcc, s[34:35], vcc
	s_andn2_b64 s[34:35], s[34:35], exec
	s_and_b64 vcc, vcc, exec
	s_or_b64 s[34:35], s[34:35], vcc
.LBB8_755:                              ;   in Loop: Header=BB8_79 Depth=1
	s_or_b64 exec, exec, s[62:63]
	v_cmp_eq_u32_e32 vcc, 0, v1
	v_cndmask_b32_e32 v14, 0, v42, vcc
	s_xor_b64 vcc, s[34:35], -1
	v_cndmask_b32_e64 v1, 0, 1, vcc
	;;#ASMSTART
	;;#ASMEND
	v_mov_b32_e32 v15, 0
	s_mov_b64 s[64:65], -1
	v_cmp_ne_u32_e32 vcc, 0, v1
	v_mov_b32_e32 v25, v14
	v_mov_b32_e32 v37, v0
	;; [unrolled: 1-line block ×3, first 2 shown]
	s_cbranch_vccnz .LBB8_769
; %bb.756:                              ;   in Loop: Header=BB8_79 Depth=1
	v_ashrrev_i32_e32 v1, 31, v14
	v_lshrrev_b32_e32 v1, 21, v1
	v_add_u32_e32 v1, v14, v1
	v_ashrrev_i32_e32 v1, 11, v1
	v_sub_u32_e32 v10, v1, v57
	v_cmp_lt_i32_e32 vcc, 0, v10
	s_and_saveexec_b64 s[34:35], vcc
	s_cbranch_execz .LBB8_760
; %bb.757:                              ;   in Loop: Header=BB8_79 Depth=1
	s_trap 2
	ds_read_b64 v[2:3], v0
	v_accvgpr_read_b32 v12, a20
	s_mov_b64 s[62:63], 0
	v_accvgpr_read_b32 v13, a21
.LBB8_758:                              ;   Parent Loop BB8_79 Depth=1
                                        ; =>  This Inner Loop Header: Depth=2
	s_waitcnt lgkmcnt(0)
	v_add_co_u32_e32 v24, vcc, v2, v12
	v_addc_co_u32_e32 v25, vcc, v3, v13, vcc
	global_load_dwordx4 v[54:57], v[24:25], off glc slc
	global_load_dwordx4 v[48:51], v[24:25], off offset:1024 glc slc
	v_add_co_u32_e32 v12, vcc, v12, v59
	v_sub_u32_e32 v10, v10, v30
	v_addc_co_u32_e32 v13, vcc, v13, v60, vcc
	v_cmp_gt_i32_e32 vcc, 1, v10
	s_or_b64 s[62:63], vcc, s[62:63]
	s_waitcnt vmcnt(0)
	global_store_dwordx4 v[24:25], v[54:57], off glc slc
	global_store_dwordx4 v[24:25], v[48:51], off offset:1024 glc slc
	s_andn2_b64 exec, exec, s[62:63]
	s_cbranch_execnz .LBB8_758
; %bb.759:                              ;   in Loop: Header=BB8_79 Depth=1
	s_or_b64 exec, exec, s[62:63]
	v_accvgpr_read_b32 v55, a17
	v_accvgpr_read_b32 v56, a12
	;; [unrolled: 1-line block ×6, first 2 shown]
.LBB8_760:                              ;   in Loop: Header=BB8_79 Depth=1
	s_or_b64 exec, exec, s[34:35]
	v_lshlrev_b32_e32 v12, 11, v1
	v_cmp_ne_u32_e32 vcc, v14, v12
	s_mov_b64 s[64:65], 0
	v_mov_b32_e32 v15, 0
                                        ; implicit-def: $vgpr25
                                        ; implicit-def: $vgpr37
                                        ; implicit-def: $vgpr1
	s_and_saveexec_b64 s[62:63], vcc
	s_cbranch_execz .LBB8_768
; %bb.761:                              ;   in Loop: Header=BB8_79 Depth=1
	v_lshlrev_b32_e32 v1, 6, v10
	v_accvgpr_read_b32 v3, a18
	v_sub_u32_e32 v1, v3, v1
	v_ashrrev_i32_e32 v3, 31, v1
	v_lshrrev_b32_e32 v3, 26, v3
	v_add_u32_e32 v3, v1, v3
	v_sub_u32_e32 v2, v14, v12
	v_ashrrev_i32_e32 v10, 6, v3
	v_and_b32_e32 v3, 0xffffffc0, v3
	v_sub_u32_e32 v13, v1, v3
	v_ashrrev_i32_e32 v3, 31, v2
	v_lshrrev_b32_e32 v3, 22, v3
	v_add_u32_e32 v3, v2, v3
	v_and_b32_e32 v49, 0xfffffc00, v3
	v_lshlrev_b32_e32 v1, 4, v13
	v_sub_u32_e32 v41, v2, v49
	v_lshl_add_u32 v1, v10, 10, v1
	v_ashrrev_i32_e32 v24, 10, v3
	v_cmp_lt_i32_e32 vcc, 15, v41
	v_sub_u32_e32 v15, v2, v1
	v_addc_co_u32_e64 v2, s[34:35], 0, v24, vcc
	v_sub_u32_e32 v40, v2, v10
	v_cmp_lt_i32_e64 s[34:35], 15, v15
	s_and_saveexec_b64 s[64:65], s[34:35]
	s_cbranch_execz .LBB8_765
; %bb.762:                              ;   in Loop: Header=BB8_79 Depth=1
	s_trap 2
	ds_read_b64 v[2:3], v0
	v_add_u32_e32 v10, v1, v12
	v_ashrrev_i32_e32 v1, 31, v10
	s_mov_b64 s[66:67], 0
.LBB8_763:                              ;   Parent Loop BB8_79 Depth=1
                                        ; =>  This Inner Loop Header: Depth=2
	s_waitcnt lgkmcnt(0)
	v_add_co_u32_e64 v24, s[34:35], v2, v10
	v_addc_co_u32_e64 v25, s[34:35], v3, v1, s[34:35]
	global_load_dwordx4 v[54:57], v[24:25], off glc slc
	v_add_co_u32_e64 v10, s[34:35], v10, v18
	v_sub_u32_e32 v15, v15, v31
	v_addc_co_u32_e64 v1, s[34:35], v1, v19, s[34:35]
	v_cmp_gt_i32_e64 s[34:35], 16, v15
	v_sub_u32_e32 v40, v40, v30
	s_or_b64 s[66:67], s[34:35], s[66:67]
	s_waitcnt vmcnt(0)
	global_store_dwordx4 v[24:25], v[54:57], off glc slc
	s_andn2_b64 exec, exec, s[66:67]
	s_cbranch_execnz .LBB8_763
; %bb.764:                              ;   in Loop: Header=BB8_79 Depth=1
	s_or_b64 exec, exec, s[66:67]
	v_accvgpr_read_b32 v55, a17
	v_accvgpr_read_b32 v56, a12
	;; [unrolled: 1-line block ×4, first 2 shown]
.LBB8_765:                              ;   in Loop: Header=BB8_79 Depth=1
	s_or_b64 exec, exec, s[64:65]
	v_and_b32_e32 v2, 15, v14
	v_cndmask_b32_e32 v25, v41, v2, vcc
	v_cmp_ne_u32_e64 s[34:35], 0, v25
	s_mov_b64 s[64:65], 0
	v_mov_b32_e32 v15, 0
                                        ; implicit-def: $vgpr37
                                        ; implicit-def: $vgpr1
	s_and_saveexec_b64 s[66:67], s[34:35]
	s_cbranch_execz .LBB8_767
; %bb.766:                              ;   in Loop: Header=BB8_79 Depth=1
	v_sub_u32_e32 v1, v41, v2
	v_cndmask_b32_e32 v1, 0, v1, vcc
	v_cmp_lt_i32_e32 vcc, 0, v40
	v_add3_u32 v15, v49, v12, v1
	v_cndmask_b32_e32 v1, 0, v30, vcc
	v_sub_u32_e32 v1, v1, v40
	v_lshl_add_u32 v37, v1, 6, v13
	v_ashrrev_i32_e32 v1, 31, v37
	v_lshrrev_b32_e32 v1, 26, v1
	v_add_u32_e32 v1, v37, v1
	s_mov_b64 s[64:65], exec
	v_ashrrev_i32_e32 v1, 6, v1
.LBB8_767:                              ;   in Loop: Header=BB8_79 Depth=1
	s_or_b64 exec, exec, s[66:67]
	s_and_b64 s[64:65], s[64:65], exec
.LBB8_768:                              ;   in Loop: Header=BB8_79 Depth=1
	s_or_b64 exec, exec, s[62:63]
.LBB8_769:                              ;   in Loop: Header=BB8_79 Depth=1
	s_and_saveexec_b64 s[34:35], s[64:65]
	s_cbranch_execz .LBB8_778
; %bb.770:                              ;   in Loop: Header=BB8_79 Depth=1
	v_ashrrev_i32_e32 v2, 31, v25
	v_lshrrev_b32_e32 v2, 22, v2
	v_add_u32_e32 v2, v25, v2
	v_ashrrev_i32_e32 v41, 10, v2
	v_sub_u32_e32 v49, v41, v1
	v_ashrrev_i32_e32 v2, 31, v37
	v_cmp_lt_i32_e32 vcc, 0, v49
	v_lshrrev_b32_e32 v40, 26, v2
	s_and_saveexec_b64 s[62:63], vcc
	s_cbranch_execz .LBB8_774
; %bb.771:                              ;   in Loop: Header=BB8_79 Depth=1
	s_trap 2
	ds_read_b64 v[2:3], v0
	v_add_u32_e32 v10, v37, v40
	v_and_b32_e32 v10, 0xffffffc0, v10
	v_sub_u32_e32 v10, v37, v10
	v_lshlrev_b32_e32 v1, 10, v1
	v_add3_u32 v10, v15, v10, v1
	v_accvgpr_write_b32 a10, v36
	v_ashrrev_i32_e32 v1, 31, v10
	s_mov_b64 s[64:65], 0
	s_waitcnt lgkmcnt(0)
	v_pk_mov_b32 v[12:13], v[2:3], v[2:3] op_sel:[0,1]
.LBB8_772:                              ;   Parent Loop BB8_79 Depth=1
                                        ; =>  This Inner Loop Header: Depth=2
	v_add_co_u32_e32 v26, vcc, v10, v12
	v_addc_co_u32_e32 v27, vcc, v1, v13, vcc
	flat_load_ubyte v24, v[26:27] glc slc
	flat_load_ubyte v48, v[26:27] offset:64 glc slc
	flat_load_ubyte v50, v[26:27] offset:128 glc slc
	;; [unrolled: 1-line block ×15, first 2 shown]
	v_add_co_u32_e32 v26, vcc, v10, v2
	v_addc_co_u32_e32 v27, vcc, v1, v3, vcc
	v_add_co_u32_e32 v12, vcc, v12, v18
	v_addc_co_u32_e32 v13, vcc, v13, v19, vcc
	v_add_co_u32_e32 v2, vcc, v2, v18
	v_sub_u32_e32 v49, v49, v30
	v_addc_co_u32_e32 v3, vcc, v3, v19, vcc
	v_cmp_gt_i32_e32 vcc, 1, v49
	s_or_b64 s[64:65], vcc, s[64:65]
	s_waitcnt vmcnt(0) lgkmcnt(0)
	flat_store_byte v[26:27], v24 glc slc
	flat_store_byte v[26:27], v48 offset:64 glc slc
	flat_store_byte v[26:27], v50 offset:128 glc slc
	;; [unrolled: 1-line block ×15, first 2 shown]
	s_andn2_b64 exec, exec, s[64:65]
	s_cbranch_execnz .LBB8_772
; %bb.773:                              ;   in Loop: Header=BB8_79 Depth=1
	s_or_b64 exec, exec, s[64:65]
	v_accvgpr_read_b32 v45, a9
	v_accvgpr_read_b32 v55, a17
	;; [unrolled: 1-line block ×5, first 2 shown]
	v_mov_b32_e32 v58, 1
	v_accvgpr_read_b32 v31, a11
	v_accvgpr_read_b32 v56, a12
	v_accvgpr_read_b32 v48, a14
	v_accvgpr_read_b32 v51, a13
	v_accvgpr_read_b32 v54, a16
	v_accvgpr_read_b32 v57, a15
.LBB8_774:                              ;   in Loop: Header=BB8_79 Depth=1
	s_or_b64 exec, exec, s[62:63]
	v_lshlrev_b32_e32 v1, 10, v41
	v_cmp_ne_u32_e32 vcc, v25, v1
	s_and_b64 exec, exec, vcc
	s_cbranch_execz .LBB8_778
; %bb.775:                              ;   in Loop: Header=BB8_79 Depth=1
	v_add_u32_e32 v2, v37, v40
	v_and_b32_e32 v2, 0xffffffc0, v2
	v_sub_u32_e32 v2, v37, v2
	v_lshlrev_b32_e32 v3, 6, v49
	v_sub_u32_e32 v2, v2, v3
	v_add_u32_e32 v1, v1, v2
	v_sub_u32_e32 v12, v25, v1
	v_cmp_lt_i32_e32 vcc, 0, v12
	s_and_b64 exec, exec, vcc
	s_cbranch_execz .LBB8_778
; %bb.776:                              ;   in Loop: Header=BB8_79 Depth=1
	s_trap 2
	ds_read_b64 v[2:3], v0
	v_add_u32_e32 v10, v1, v15
	v_ashrrev_i32_e32 v1, 31, v10
	s_mov_b64 s[62:63], 0
.LBB8_777:                              ;   Parent Loop BB8_79 Depth=1
                                        ; =>  This Inner Loop Header: Depth=2
	s_waitcnt lgkmcnt(0)
	v_add_co_u32_e32 v24, vcc, v2, v10
	v_addc_co_u32_e32 v25, vcc, v3, v1, vcc
	flat_load_ubyte v11, v[24:25] glc slc
	v_add_co_u32_e32 v10, vcc, v10, v61
	v_sub_u32_e32 v12, v12, v47
	v_addc_co_u32_e32 v1, vcc, v1, v62, vcc
	v_cmp_gt_i32_e32 vcc, 1, v12
	s_or_b64 s[62:63], vcc, s[62:63]
	s_waitcnt vmcnt(0) lgkmcnt(0)
	flat_store_byte v[24:25], v11 glc slc
	s_andn2_b64 exec, exec, s[62:63]
	s_cbranch_execnz .LBB8_777
.LBB8_778:                              ;   in Loop: Header=BB8_79 Depth=1
	s_or_b64 exec, exec, s[34:35]
	v_cmp_lt_i32_e64 s[34:35], 0, v14
	s_and_saveexec_b64 s[62:63], s[14:15]
	s_cbranch_execnz .LBB8_785
.LBB8_779:                              ;   in Loop: Header=BB8_79 Depth=1
	s_or_b64 exec, exec, s[62:63]
                                        ; implicit-def: $vgpr1
	s_and_saveexec_b64 vcc, s[28:29]
	s_xor_b64 s[62:63], exec, vcc
	s_cbranch_execz .LBB8_822
.LBB8_780:                              ;   in Loop: Header=BB8_79 Depth=1
	v_and_b32_e32 v2, 16, v46
	v_cmp_ne_u32_e32 vcc, 0, v2
	v_and_b32_e32 v1, 16, v46
	s_and_b64 s[34:35], vcc, s[34:35]
	s_and_saveexec_b64 vcc, s[34:35]
	s_cbranch_execz .LBB8_782
; %bb.781:                              ;   in Loop: Header=BB8_79 Depth=1
	v_mov_b32_e32 v1, 1
	s_waitcnt vmcnt(0) lgkmcnt(0)
	buffer_wbinvl1_vol
.LBB8_782:                              ;   in Loop: Header=BB8_79 Depth=1
	s_or_b64 exec, exec, vcc
	s_andn2_saveexec_b64 s[34:35], s[62:63]
	s_cbranch_execnz .LBB8_823
.LBB8_783:                              ;   in Loop: Header=BB8_79 Depth=1
	s_or_b64 exec, exec, s[34:35]
	v_cmp_ne_u32_e32 vcc, 0, v1
	s_and_saveexec_b64 s[34:35], vcc
	s_cbranch_execnz .LBB8_890
	s_branch .LBB8_893
.LBB8_784:                              ;   in Loop: Header=BB8_79 Depth=1
	s_and_saveexec_b64 s[62:63], s[14:15]
	s_cbranch_execz .LBB8_779
.LBB8_785:                              ;   in Loop: Header=BB8_79 Depth=1
	s_and_saveexec_b64 vcc, s[52:53]
	s_xor_b64 s[64:65], exec, vcc
	s_cbranch_execz .LBB8_819
; %bb.786:                              ;   in Loop: Header=BB8_79 Depth=1
	s_and_saveexec_b64 s[66:67], s[20:21]
	s_cbranch_execz .LBB8_818
; %bb.787:                              ;   in Loop: Header=BB8_79 Depth=1
	s_mov_b64 s[70:71], exec
	v_mbcnt_lo_u32_b32 v1, s70, 0
	v_mbcnt_hi_u32_b32 v1, s71, v1
	v_cmp_eq_u32_e32 vcc, 0, v1
	s_waitcnt vmcnt(0) lgkmcnt(0)
	buffer_wbinvl1_vol
	s_and_saveexec_b64 s[68:69], vcc
	s_cbranch_execz .LBB8_789
; %bb.788:                              ;   in Loop: Header=BB8_79 Depth=1
	s_bcnt1_i32_b64 vcc_lo, s[70:71]
	v_mov_b32_e32 v2, vcc_lo
	v_mov_b32_e32 v3, v36
	ds_add_u64 v0, v[2:3]
	s_trap 2
.LBB8_789:                              ;   in Loop: Header=BB8_79 Depth=1
	s_or_b64 exec, exec, s[68:69]
	s_trap 2
	ds_read_b64 v[2:3], v0
	v_add_co_u32_e32 v28, vcc, v28, v30
	v_addc_co_u32_e32 v29, vcc, 0, v29, vcc
	s_waitcnt lgkmcnt(0)
	v_cmp_lt_u64_e32 vcc, v[2:3], v[28:29]
	s_and_saveexec_b64 s[68:69], vcc
	s_cbranch_execz .LBB8_817
; %bb.790:                              ;   in Loop: Header=BB8_79 Depth=1
	s_mov_b32 s84, 0
	s_mov_b64 s[70:71], 0
                                        ; implicit-def: $sgpr72_sgpr73
                                        ; implicit-def: $sgpr74_sgpr75
	s_branch .LBB8_792
.LBB8_791:                              ;   in Loop: Header=BB8_792 Depth=2
	s_or_b64 exec, exec, s[78:79]
	s_and_b64 vcc, exec, vcc
	s_or_b64 s[70:71], vcc, s[70:71]
	s_andn2_b64 vcc, s[72:73], exec
	s_and_b64 s[72:73], s[74:75], exec
	s_or_b64 s[72:73], vcc, s[72:73]
	s_andn2_b64 exec, exec, s[70:71]
	s_cbranch_execz .LBB8_815
.LBB8_792:                              ;   Parent Loop BB8_79 Depth=1
                                        ; =>  This Inner Loop Header: Depth=2
	s_add_i32 s84, s84, 1
	s_cmpk_lg_i32 s84, 0x2710
	s_cselect_b64 s[76:77], -1, 0
	s_and_b64 vcc, exec, s[76:77]
                                        ; implicit-def: $sgpr78_sgpr79
	s_cbranch_vccnz .LBB8_794
; %bb.793:                              ;   in Loop: Header=BB8_792 Depth=2
	s_trap 2
	ds_read_b64 v[2:3], v0
	s_andn2_b64 s[76:77], s[76:77], exec
	s_mov_b32 s84, 0
	s_mov_b64 s[78:79], -1
	s_waitcnt lgkmcnt(0)
	flat_load_dword v1, v[2:3] glc
	s_waitcnt vmcnt(0) lgkmcnt(0)
	buffer_invl2
	buffer_wbinvl1_vol
	v_cmp_eq_u32_e32 vcc, 0, v1
	s_and_b64 vcc, vcc, exec
	s_or_b64 s[76:77], s[76:77], vcc
.LBB8_794:                              ;   in Loop: Header=BB8_792 Depth=2
	s_andn2_b64 s[74:75], s[74:75], exec
	s_and_b64 s[78:79], s[78:79], exec
	s_mov_b64 vcc, -1
	s_or_b64 s[74:75], s[74:75], s[78:79]
	s_and_saveexec_b64 s[78:79], s[76:77]
	s_cbranch_execz .LBB8_791
; %bb.795:                              ;   in Loop: Header=BB8_792 Depth=2
	s_sleep 1
	s_trap 2
	ds_read_b64 v[2:3], v0
	s_andn2_b64 s[74:75], s[74:75], exec
	s_waitcnt lgkmcnt(0)
	v_cmp_ge_u64_e32 vcc, v[2:3], v[28:29]
	s_orn2_b64 vcc, vcc, exec
	s_branch .LBB8_791
.LBB8_796:                              ;   in Loop: Header=BB8_79 Depth=1
	s_or_b64 exec, exec, s[68:69]
	s_and_saveexec_b64 vcc, s[70:71]
	s_xor_b64 vcc, exec, vcc
	s_cbranch_execz .LBB8_798
; %bb.797:                              ;   in Loop: Header=BB8_79 Depth=1
	ds_write_b32 v0, v58
	s_trap 2
.LBB8_798:                              ;   in Loop: Header=BB8_79 Depth=1
	s_or_b64 exec, exec, s[66:67]
	;;#ASMSTART
	s_wakeup
	;;#ASMEND
.LBB8_799:                              ;   in Loop: Header=BB8_79 Depth=1
	s_or_b64 exec, exec, s[64:65]
.LBB8_800:                              ;   in Loop: Header=BB8_79 Depth=1
	s_andn2_saveexec_b64 vcc, s[62:63]
	s_cbranch_execz .LBB8_802
; %bb.801:                              ;   in Loop: Header=BB8_79 Depth=1
	s_waitcnt vmcnt(0) lgkmcnt(0)
	buffer_wbinvl1_vol
	s_barrier
.LBB8_802:                              ;   in Loop: Header=BB8_79 Depth=1
	s_or_b64 exec, exec, vcc
	s_or_b64 exec, exec, s[58:59]
	s_and_saveexec_b64 vcc, s[28:29]
	s_xor_b64 s[58:59], exec, vcc
	s_cbranch_execnz .LBB8_728
.LBB8_803:                              ;   in Loop: Header=BB8_79 Depth=1
	s_andn2_saveexec_b64 s[36:37], s[58:59]
	s_cbranch_execz .LBB8_841
.LBB8_804:                              ;   in Loop: Header=BB8_79 Depth=1
	s_and_saveexec_b64 vcc, s[52:53]
	s_xor_b64 s[58:59], exec, vcc
	s_cbranch_execz .LBB8_838
; %bb.805:                              ;   in Loop: Header=BB8_79 Depth=1
	s_and_saveexec_b64 s[62:63], s[20:21]
	s_cbranch_execz .LBB8_837
; %bb.806:                              ;   in Loop: Header=BB8_79 Depth=1
	s_mov_b64 s[66:67], exec
	v_mbcnt_lo_u32_b32 v1, s66, 0
	v_mbcnt_hi_u32_b32 v1, s67, v1
	v_cmp_eq_u32_e32 vcc, 0, v1
	;;#ASMSTART
	s_waitcnt lgkmcnt(0) vmcnt(0)
	;;#ASMEND
	s_and_saveexec_b64 s[64:65], vcc
	s_cbranch_execz .LBB8_808
; %bb.807:                              ;   in Loop: Header=BB8_79 Depth=1
	s_bcnt1_i32_b64 vcc_lo, s[66:67]
	v_mov_b32_e32 v2, vcc_lo
	v_mov_b32_e32 v3, v36
	ds_add_u64 v0, v[2:3]
	s_trap 2
.LBB8_808:                              ;   in Loop: Header=BB8_79 Depth=1
	s_or_b64 exec, exec, s[64:65]
	s_trap 2
	ds_read_b64 v[2:3], v0
	v_add_co_u32_e32 v28, vcc, v28, v30
	v_addc_co_u32_e32 v29, vcc, 0, v29, vcc
	s_waitcnt lgkmcnt(0)
	v_cmp_lt_u64_e32 vcc, v[2:3], v[28:29]
	s_and_saveexec_b64 s[64:65], vcc
	s_cbranch_execz .LBB8_836
; %bb.809:                              ;   in Loop: Header=BB8_79 Depth=1
	s_mov_b32 s76, 0
	s_mov_b64 s[66:67], 0
                                        ; implicit-def: $sgpr68_sgpr69
                                        ; implicit-def: $sgpr70_sgpr71
	s_branch .LBB8_811
.LBB8_810:                              ;   in Loop: Header=BB8_811 Depth=2
	s_or_b64 exec, exec, s[74:75]
	s_and_b64 vcc, exec, vcc
	s_or_b64 s[66:67], vcc, s[66:67]
	s_andn2_b64 vcc, s[68:69], exec
	s_and_b64 s[68:69], s[70:71], exec
	s_or_b64 s[68:69], vcc, s[68:69]
	s_andn2_b64 exec, exec, s[66:67]
	s_cbranch_execz .LBB8_834
.LBB8_811:                              ;   Parent Loop BB8_79 Depth=1
                                        ; =>  This Inner Loop Header: Depth=2
	s_add_i32 s76, s76, 1
	s_cmpk_lg_i32 s76, 0x2710
	s_cselect_b64 s[72:73], -1, 0
	s_and_b64 vcc, exec, s[72:73]
                                        ; implicit-def: $sgpr74_sgpr75
	s_cbranch_vccnz .LBB8_813
; %bb.812:                              ;   in Loop: Header=BB8_811 Depth=2
	s_trap 2
	ds_read_b64 v[2:3], v0
	s_andn2_b64 s[72:73], s[72:73], exec
	s_mov_b32 s76, 0
	s_mov_b64 s[74:75], -1
	s_waitcnt vmcnt(0) lgkmcnt(0)
	flat_load_dword v1, v[2:3] glc
	s_waitcnt vmcnt(0) lgkmcnt(0)
	buffer_invl2
	buffer_wbinvl1_vol
	v_cmp_eq_u32_e32 vcc, 0, v1
	s_and_b64 vcc, vcc, exec
	s_or_b64 s[72:73], s[72:73], vcc
.LBB8_813:                              ;   in Loop: Header=BB8_811 Depth=2
	s_andn2_b64 s[70:71], s[70:71], exec
	s_and_b64 s[74:75], s[74:75], exec
	s_mov_b64 vcc, -1
	s_or_b64 s[70:71], s[70:71], s[74:75]
	s_and_saveexec_b64 s[74:75], s[72:73]
	s_cbranch_execz .LBB8_810
; %bb.814:                              ;   in Loop: Header=BB8_811 Depth=2
	s_sleep 1
	s_trap 2
	ds_read_b64 v[2:3], v0
	s_andn2_b64 s[70:71], s[70:71], exec
	s_waitcnt lgkmcnt(0)
	v_cmp_ge_u64_e32 vcc, v[2:3], v[28:29]
	s_orn2_b64 vcc, vcc, exec
	s_branch .LBB8_810
.LBB8_815:                              ;   in Loop: Header=BB8_79 Depth=1
	s_or_b64 exec, exec, s[70:71]
	s_and_saveexec_b64 vcc, s[72:73]
	s_xor_b64 vcc, exec, vcc
	s_cbranch_execz .LBB8_817
; %bb.816:                              ;   in Loop: Header=BB8_79 Depth=1
	ds_write_b32 v0, v58
	s_trap 2
.LBB8_817:                              ;   in Loop: Header=BB8_79 Depth=1
	s_or_b64 exec, exec, s[68:69]
	;;#ASMSTART
	s_wakeup
	;;#ASMEND
.LBB8_818:                              ;   in Loop: Header=BB8_79 Depth=1
	s_or_b64 exec, exec, s[66:67]
.LBB8_819:                              ;   in Loop: Header=BB8_79 Depth=1
	s_andn2_saveexec_b64 vcc, s[64:65]
	s_cbranch_execz .LBB8_821
; %bb.820:                              ;   in Loop: Header=BB8_79 Depth=1
	s_waitcnt vmcnt(0) lgkmcnt(0)
	buffer_wbinvl1_vol
	s_barrier
.LBB8_821:                              ;   in Loop: Header=BB8_79 Depth=1
	s_or_b64 exec, exec, vcc
	s_or_b64 exec, exec, s[62:63]
                                        ; implicit-def: $vgpr1
	s_and_saveexec_b64 vcc, s[28:29]
	s_xor_b64 s[62:63], exec, vcc
	s_cbranch_execnz .LBB8_780
.LBB8_822:                              ;   in Loop: Header=BB8_79 Depth=1
	s_andn2_saveexec_b64 s[34:35], s[62:63]
	s_cbranch_execz .LBB8_783
.LBB8_823:                              ;   in Loop: Header=BB8_79 Depth=1
	s_and_saveexec_b64 vcc, s[52:53]
	s_xor_b64 s[62:63], exec, vcc
	s_cbranch_execz .LBB8_887
; %bb.824:                              ;   in Loop: Header=BB8_79 Depth=1
	s_and_saveexec_b64 s[64:65], s[20:21]
	s_cbranch_execz .LBB8_886
; %bb.825:                              ;   in Loop: Header=BB8_79 Depth=1
	s_mov_b64 s[68:69], exec
	v_mbcnt_lo_u32_b32 v1, s68, 0
	v_mbcnt_hi_u32_b32 v1, s69, v1
	v_cmp_eq_u32_e32 vcc, 0, v1
	;;#ASMSTART
	s_waitcnt lgkmcnt(0) vmcnt(0)
	;;#ASMEND
	s_and_saveexec_b64 s[66:67], vcc
	s_cbranch_execz .LBB8_827
; %bb.826:                              ;   in Loop: Header=BB8_79 Depth=1
	s_bcnt1_i32_b64 vcc_lo, s[68:69]
	v_mov_b32_e32 v2, vcc_lo
	v_mov_b32_e32 v3, v36
	ds_add_u64 v0, v[2:3]
	s_trap 2
.LBB8_827:                              ;   in Loop: Header=BB8_79 Depth=1
	s_or_b64 exec, exec, s[66:67]
	s_trap 2
	ds_read_b64 v[2:3], v0
	v_add_co_u32_e32 v28, vcc, v28, v30
	v_addc_co_u32_e32 v29, vcc, 0, v29, vcc
	s_waitcnt lgkmcnt(0)
	v_cmp_lt_u64_e32 vcc, v[2:3], v[28:29]
	s_and_saveexec_b64 s[66:67], vcc
	s_cbranch_execz .LBB8_885
; %bb.828:                              ;   in Loop: Header=BB8_79 Depth=1
	s_mov_b32 s78, 0
	s_mov_b64 s[68:69], 0
                                        ; implicit-def: $sgpr70_sgpr71
                                        ; implicit-def: $sgpr72_sgpr73
	s_branch .LBB8_830
.LBB8_829:                              ;   in Loop: Header=BB8_830 Depth=2
	s_or_b64 exec, exec, s[76:77]
	s_and_b64 vcc, exec, vcc
	s_or_b64 s[68:69], vcc, s[68:69]
	s_andn2_b64 vcc, s[70:71], exec
	s_and_b64 s[70:71], s[72:73], exec
	s_or_b64 s[70:71], vcc, s[70:71]
	s_andn2_b64 exec, exec, s[68:69]
	s_cbranch_execz .LBB8_883
.LBB8_830:                              ;   Parent Loop BB8_79 Depth=1
                                        ; =>  This Inner Loop Header: Depth=2
	s_add_i32 s78, s78, 1
	s_cmpk_lg_i32 s78, 0x2710
	s_cselect_b64 s[74:75], -1, 0
	s_and_b64 vcc, exec, s[74:75]
                                        ; implicit-def: $sgpr76_sgpr77
	s_cbranch_vccnz .LBB8_832
; %bb.831:                              ;   in Loop: Header=BB8_830 Depth=2
	s_trap 2
	ds_read_b64 v[2:3], v0
	s_andn2_b64 s[74:75], s[74:75], exec
	s_mov_b32 s78, 0
	s_mov_b64 s[76:77], -1
	s_waitcnt vmcnt(0) lgkmcnt(0)
	flat_load_dword v1, v[2:3] glc
	s_waitcnt vmcnt(0) lgkmcnt(0)
	buffer_invl2
	buffer_wbinvl1_vol
	v_cmp_eq_u32_e32 vcc, 0, v1
	s_and_b64 vcc, vcc, exec
	s_or_b64 s[74:75], s[74:75], vcc
.LBB8_832:                              ;   in Loop: Header=BB8_830 Depth=2
	s_andn2_b64 s[72:73], s[72:73], exec
	s_and_b64 s[76:77], s[76:77], exec
	s_mov_b64 vcc, -1
	s_or_b64 s[72:73], s[72:73], s[76:77]
	s_and_saveexec_b64 s[76:77], s[74:75]
	s_cbranch_execz .LBB8_829
; %bb.833:                              ;   in Loop: Header=BB8_830 Depth=2
	s_sleep 1
	s_trap 2
	ds_read_b64 v[2:3], v0
	s_andn2_b64 s[72:73], s[72:73], exec
	s_waitcnt lgkmcnt(0)
	v_cmp_ge_u64_e32 vcc, v[2:3], v[28:29]
	s_orn2_b64 vcc, vcc, exec
	s_branch .LBB8_829
.LBB8_834:                              ;   in Loop: Header=BB8_79 Depth=1
	s_or_b64 exec, exec, s[66:67]
	s_and_saveexec_b64 vcc, s[68:69]
	s_xor_b64 vcc, exec, vcc
	s_cbranch_execz .LBB8_836
; %bb.835:                              ;   in Loop: Header=BB8_79 Depth=1
	ds_write_b32 v0, v58
	s_trap 2
.LBB8_836:                              ;   in Loop: Header=BB8_79 Depth=1
	s_or_b64 exec, exec, s[64:65]
	;;#ASMSTART
	s_wakeup
	;;#ASMEND
.LBB8_837:                              ;   in Loop: Header=BB8_79 Depth=1
	s_or_b64 exec, exec, s[62:63]
.LBB8_838:                              ;   in Loop: Header=BB8_79 Depth=1
	s_andn2_saveexec_b64 vcc, s[58:59]
	s_cbranch_execz .LBB8_840
; %bb.839:                              ;   in Loop: Header=BB8_79 Depth=1
	;;#ASMSTART
	s_waitcnt lgkmcnt(0) vmcnt(0)
	;;#ASMEND
	s_barrier
.LBB8_840:                              ;   in Loop: Header=BB8_79 Depth=1
	s_or_b64 exec, exec, vcc
.LBB8_841:                              ;   in Loop: Header=BB8_79 Depth=1
	s_or_b64 exec, exec, s[36:37]
	v_and_b32_e32 v1, 32, v46
	v_cmp_ne_u32_e32 vcc, 0, v1
	s_and_saveexec_b64 s[36:37], vcc
	s_cbranch_execz .LBB8_843
; %bb.842:                              ;   in Loop: Header=BB8_79 Depth=1
	v_add_co_u32_e32 v8, vcc, 1, v8
	v_addc_co_u32_e32 v9, vcc, 0, v9, vcc
	flat_store_dwordx2 v[22:23], v[8:9]
.LBB8_843:                              ;   in Loop: Header=BB8_79 Depth=1
	s_or_b64 exec, exec, s[36:37]
	v_mov_b32_e32 v1, v42
.LBB8_844:                              ;   in Loop: Header=BB8_79 Depth=1
	s_or_b64 exec, exec, s[42:43]
	s_mov_b64 vcc, s[38:39]
	s_and_saveexec_b64 s[42:43], s[30:31]
	s_cbranch_execz .LBB8_993
; %bb.845:                              ;   in Loop: Header=BB8_79 Depth=1
	v_and_b32_e32 v2, 4, v46
	v_cmp_ne_u32_e32 vcc, 0, v2
	s_mov_b64 s[58:59], -1
	s_and_saveexec_b64 s[36:37], vcc
	s_cbranch_execz .LBB8_855
; %bb.846:                              ;   in Loop: Header=BB8_79 Depth=1
	v_add_co_u32_e32 v2, vcc, 1, v8
	v_addc_co_u32_e32 v3, vcc, 0, v9, vcc
	v_cmp_lt_u64_e32 vcc, v[34:35], v[2:3]
	v_mov_b32_e32 v10, 1
	s_and_saveexec_b64 s[58:59], vcc
	s_cbranch_execz .LBB8_870
; %bb.847:                              ;   in Loop: Header=BB8_79 Depth=1
	s_mov_b64 s[62:63], 0
	v_mov_b32_e32 v10, 0
                                        ; implicit-def: $sgpr64_sgpr65
	s_branch .LBB8_851
.LBB8_848:                              ;   in Loop: Header=BB8_851 Depth=2
	s_or_b64 exec, exec, s[72:73]
	v_mov_b32_e32 v12, 0
	s_orn2_b64 s[70:71], s[70:71], exec
.LBB8_849:                              ;   in Loop: Header=BB8_851 Depth=2
	s_or_b64 exec, exec, s[68:69]
	s_andn2_b64 vcc, s[64:65], exec
	s_and_b64 s[64:65], s[70:71], exec
	s_or_b64 s[64:65], vcc, s[64:65]
	v_mov_b32_e32 v10, v12
.LBB8_850:                              ;   in Loop: Header=BB8_851 Depth=2
	s_or_b64 exec, exec, s[66:67]
	s_waitcnt vmcnt(0) lgkmcnt(0)
	v_cmp_ge_u64_e32 vcc, v[34:35], v[2:3]
	s_xor_b64 s[66:67], s[64:65], -1
	s_or_b64 vcc, s[66:67], vcc
	s_and_b64 vcc, exec, vcc
	s_or_b64 s[62:63], vcc, s[62:63]
	s_andn2_b64 exec, exec, s[62:63]
	s_cbranch_execz .LBB8_869
.LBB8_851:                              ;   Parent Loop BB8_79 Depth=1
                                        ; =>  This Inner Loop Header: Depth=2
	s_sleep 1
	flat_load_dwordx2 v[34:35], v[22:23] glc
	v_and_b32_e32 v11, 64, v46
	v_cmp_eq_u32_e32 vcc, 0, v11
	s_andn2_b64 s[64:65], s[64:65], exec
	s_and_saveexec_b64 s[66:67], vcc
	s_cbranch_execz .LBB8_850
; %bb.852:                              ;   in Loop: Header=BB8_851 Depth=2
	v_add_u32_e32 v12, 1, v10
	v_cmp_lt_i32_e32 vcc, s81, v10
	s_mov_b64 s[70:71], -1
	s_and_saveexec_b64 s[68:69], vcc
	s_cbranch_execz .LBB8_849
; %bb.853:                              ;   in Loop: Header=BB8_851 Depth=2
	s_trap 2
	ds_read_b64 v[12:13], v0
	s_waitcnt vmcnt(0) lgkmcnt(0)
	flat_load_dword v10, v[12:13] glc
	s_waitcnt vmcnt(0) lgkmcnt(0)
	buffer_invl2
	buffer_wbinvl1_vol
	v_cmp_ne_u32_e32 vcc, 0, v10
	s_and_saveexec_b64 s[72:73], vcc
	s_cbranch_execz .LBB8_848
; %bb.854:                              ;   in Loop: Header=BB8_851 Depth=2
	v_or_b32_e32 v46, 64, v46
	s_xor_b64 s[70:71], exec, -1
	ds_write_b32 v0, v10
	s_trap 2
	s_branch .LBB8_848
.LBB8_855:                              ;   in Loop: Header=BB8_79 Depth=1
	s_or_b64 exec, exec, s[36:37]
	s_xor_b64 vcc, s[58:59], -1
	s_and_saveexec_b64 s[58:59], vcc
	s_cbranch_execz .LBB8_871
.LBB8_856:                              ;   in Loop: Header=BB8_79 Depth=1
	v_and_b32_e32 v2, 0x100, v46
	v_cmp_ne_u32_e32 vcc, 0, v2
	v_and_b32_e32 v10, 7, v8
	s_mov_b64 s[36:37], -1
                                        ; implicit-def: $vgpr2_vgpr3
	s_and_saveexec_b64 s[62:63], vcc
	s_cbranch_execz .LBB8_860
; %bb.857:                              ;   in Loop: Header=BB8_79 Depth=1
	v_mad_u64_u32 v[12:13], vcc, v10, 24, v[6:7]
	flat_load_dword v2, v[12:13]
	s_waitcnt vmcnt(0) lgkmcnt(0)
	v_cmp_ne_u32_e32 vcc, 1, v2
	v_cmp_eq_u32_e64 s[36:37], 1, v2
                                        ; implicit-def: $vgpr2_vgpr3
	s_and_saveexec_b64 s[64:65], s[36:37]
	s_cbranch_execz .LBB8_859
; %bb.858:                              ;   in Loop: Header=BB8_79 Depth=1
	flat_load_dword v2, v[12:13] offset:4 glc
	s_waitcnt vmcnt(0) lgkmcnt(0)
	v_ashrrev_i32_e32 v3, 31, v2
.LBB8_859:                              ;   in Loop: Header=BB8_79 Depth=1
	s_or_b64 exec, exec, s[64:65]
	s_orn2_b64 s[36:37], vcc, exec
.LBB8_860:                              ;   in Loop: Header=BB8_79 Depth=1
	s_or_b64 exec, exec, s[62:63]
	s_and_saveexec_b64 vcc, s[36:37]
; %bb.861:                              ;   in Loop: Header=BB8_79 Depth=1
	v_mad_i64_i32 v[2:3], s[36:37], v10, v52, 0
; %bb.862:                              ;   in Loop: Header=BB8_79 Depth=1
	s_or_b64 exec, exec, vcc
	v_add_co_u32_e32 v2, vcc, v32, v2
	v_addc_co_u32_e32 v3, vcc, v33, v3, vcc
	ds_write_b64 v0, v[2:3] offset:720
	v_and_b32_e32 v2, 0x2000, v46
	v_cmp_ne_u32_e32 vcc, 0, v2
	s_and_saveexec_b64 s[36:37], vcc
	s_cbranch_execz .LBB8_864
; %bb.863:                              ;   in Loop: Header=BB8_79 Depth=1
	ds_read_b64 v[2:3], v0 offset:584
	s_waitcnt lgkmcnt(0)
	v_add_co_u32_e32 v2, vcc, 1, v2
	v_addc_co_u32_e32 v3, vcc, 0, v3, vcc
	ds_write_b64 v0, v[2:3] offset:584
.LBB8_864:                              ;   in Loop: Header=BB8_79 Depth=1
	s_or_b64 exec, exec, s[36:37]
	v_add_co_u32_e32 v8, vcc, 1, v8
	v_addc_co_u32_e32 v9, vcc, 0, v9, vcc
	s_or_b64 exec, exec, s[58:59]
	s_and_saveexec_b64 s[36:37], s[14:15]
	s_cbranch_execnz .LBB8_872
.LBB8_865:                              ;   in Loop: Header=BB8_79 Depth=1
	s_or_b64 exec, exec, s[36:37]
	s_and_saveexec_b64 vcc, s[28:29]
	s_xor_b64 s[36:37], exec, vcc
	s_cbranch_execz .LBB8_948
.LBB8_866:                              ;   in Loop: Header=BB8_79 Depth=1
	s_trap 2
	ds_read_b32 v2, v0
	v_sub_u32_e32 v1, v53, v1
	v_min_i32_e32 v1, v42, v1
	v_cmp_lt_i32_e32 vcc, 0, v1
	v_and_b32_e32 v1, 16, v46
	s_waitcnt lgkmcnt(0)
	v_readfirstlane_b32 s58, v2
	s_cmp_eq_u32 s58, 0
	s_cselect_b64 s[58:59], -1, 0
	s_and_b64 s[58:59], vcc, s[58:59]
	v_cmp_ne_u32_e32 vcc, 0, v1
	s_and_b64 s[58:59], vcc, s[58:59]
	s_and_saveexec_b64 vcc, s[58:59]
	s_cbranch_execz .LBB8_868
; %bb.867:                              ;   in Loop: Header=BB8_79 Depth=1
	s_waitcnt vmcnt(0)
	buffer_wbinvl1_vol
.LBB8_868:                              ;   in Loop: Header=BB8_79 Depth=1
	s_or_b64 exec, exec, vcc
	s_andn2_saveexec_b64 s[36:37], s[36:37]
	s_cbranch_execz .LBB8_992
	s_branch .LBB8_949
.LBB8_869:                              ;   in Loop: Header=BB8_79 Depth=1
	s_or_b64 exec, exec, s[62:63]
	v_and_b32_e32 v10, 4, v46
.LBB8_870:                              ;   in Loop: Header=BB8_79 Depth=1
	s_or_b64 exec, exec, s[58:59]
	v_cmp_eq_u32_e32 vcc, 0, v10
	s_orn2_b64 s[58:59], vcc, exec
	;;#ASMSTART
	s_wakeup
	;;#ASMEND
	s_or_b64 exec, exec, s[36:37]
	s_xor_b64 vcc, s[58:59], -1
	s_and_saveexec_b64 s[58:59], vcc
	s_cbranch_execnz .LBB8_856
.LBB8_871:                              ;   in Loop: Header=BB8_79 Depth=1
	s_or_b64 exec, exec, s[58:59]
	s_and_saveexec_b64 s[36:37], s[14:15]
	s_cbranch_execz .LBB8_865
.LBB8_872:                              ;   in Loop: Header=BB8_79 Depth=1
	s_and_saveexec_b64 vcc, s[52:53]
	s_xor_b64 s[58:59], exec, vcc
	s_cbranch_execz .LBB8_945
; %bb.873:                              ;   in Loop: Header=BB8_79 Depth=1
	s_and_saveexec_b64 s[62:63], s[20:21]
	s_cbranch_execz .LBB8_944
; %bb.874:                              ;   in Loop: Header=BB8_79 Depth=1
	s_mov_b64 s[66:67], exec
	v_mbcnt_lo_u32_b32 v2, s66, 0
	v_mbcnt_hi_u32_b32 v2, s67, v2
	v_cmp_eq_u32_e32 vcc, 0, v2
	s_waitcnt vmcnt(0) lgkmcnt(0)
	buffer_wbinvl1_vol
	s_and_saveexec_b64 s[64:65], vcc
	s_cbranch_execz .LBB8_876
; %bb.875:                              ;   in Loop: Header=BB8_79 Depth=1
	s_bcnt1_i32_b64 vcc_lo, s[66:67]
	v_mov_b32_e32 v2, vcc_lo
	v_mov_b32_e32 v3, v36
	ds_add_u64 v0, v[2:3]
	s_trap 2
.LBB8_876:                              ;   in Loop: Header=BB8_79 Depth=1
	s_or_b64 exec, exec, s[64:65]
	s_trap 2
	ds_read_b64 v[2:3], v0
	v_add_co_u32_e32 v28, vcc, v28, v30
	v_addc_co_u32_e32 v29, vcc, 0, v29, vcc
	s_waitcnt lgkmcnt(0)
	v_cmp_lt_u64_e32 vcc, v[2:3], v[28:29]
	s_and_saveexec_b64 s[64:65], vcc
	s_cbranch_execz .LBB8_943
; %bb.877:                              ;   in Loop: Header=BB8_79 Depth=1
	s_mov_b32 s76, 0
	s_mov_b64 s[66:67], 0
                                        ; implicit-def: $sgpr68_sgpr69
                                        ; implicit-def: $sgpr70_sgpr71
	s_branch .LBB8_879
.LBB8_878:                              ;   in Loop: Header=BB8_879 Depth=2
	s_or_b64 exec, exec, s[74:75]
	s_and_b64 vcc, exec, vcc
	s_or_b64 s[66:67], vcc, s[66:67]
	s_andn2_b64 vcc, s[68:69], exec
	s_and_b64 s[68:69], s[70:71], exec
	s_or_b64 s[68:69], vcc, s[68:69]
	s_andn2_b64 exec, exec, s[66:67]
	s_cbranch_execz .LBB8_941
.LBB8_879:                              ;   Parent Loop BB8_79 Depth=1
                                        ; =>  This Inner Loop Header: Depth=2
	s_add_i32 s76, s76, 1
	s_cmpk_lg_i32 s76, 0x2710
	s_cselect_b64 s[72:73], -1, 0
	s_and_b64 vcc, exec, s[72:73]
                                        ; implicit-def: $sgpr74_sgpr75
	s_cbranch_vccnz .LBB8_881
; %bb.880:                              ;   in Loop: Header=BB8_879 Depth=2
	s_trap 2
	ds_read_b64 v[2:3], v0
	s_andn2_b64 s[72:73], s[72:73], exec
	s_mov_b32 s76, 0
	s_mov_b64 s[74:75], -1
	s_waitcnt lgkmcnt(0)
	flat_load_dword v2, v[2:3] glc
	s_waitcnt vmcnt(0) lgkmcnt(0)
	buffer_invl2
	buffer_wbinvl1_vol
	v_cmp_eq_u32_e32 vcc, 0, v2
	s_and_b64 vcc, vcc, exec
	s_or_b64 s[72:73], s[72:73], vcc
.LBB8_881:                              ;   in Loop: Header=BB8_879 Depth=2
	s_andn2_b64 s[70:71], s[70:71], exec
	s_and_b64 s[74:75], s[74:75], exec
	s_mov_b64 vcc, -1
	s_or_b64 s[70:71], s[70:71], s[74:75]
	s_and_saveexec_b64 s[74:75], s[72:73]
	s_cbranch_execz .LBB8_878
; %bb.882:                              ;   in Loop: Header=BB8_879 Depth=2
	s_sleep 1
	s_trap 2
	ds_read_b64 v[2:3], v0
	s_andn2_b64 s[70:71], s[70:71], exec
	s_waitcnt lgkmcnt(0)
	v_cmp_ge_u64_e32 vcc, v[2:3], v[28:29]
	s_orn2_b64 vcc, vcc, exec
	s_branch .LBB8_878
.LBB8_883:                              ;   in Loop: Header=BB8_79 Depth=1
	s_or_b64 exec, exec, s[68:69]
	s_and_saveexec_b64 vcc, s[70:71]
	s_xor_b64 vcc, exec, vcc
	s_cbranch_execz .LBB8_885
; %bb.884:                              ;   in Loop: Header=BB8_79 Depth=1
	ds_write_b32 v0, v58
	s_trap 2
.LBB8_885:                              ;   in Loop: Header=BB8_79 Depth=1
	s_or_b64 exec, exec, s[66:67]
	;;#ASMSTART
	s_wakeup
	;;#ASMEND
.LBB8_886:                              ;   in Loop: Header=BB8_79 Depth=1
	s_or_b64 exec, exec, s[64:65]
.LBB8_887:                              ;   in Loop: Header=BB8_79 Depth=1
	s_andn2_saveexec_b64 vcc, s[62:63]
	s_cbranch_execz .LBB8_889
; %bb.888:                              ;   in Loop: Header=BB8_79 Depth=1
	;;#ASMSTART
	s_waitcnt lgkmcnt(0) vmcnt(0)
	;;#ASMEND
	s_barrier
.LBB8_889:                              ;   in Loop: Header=BB8_79 Depth=1
	s_or_b64 exec, exec, vcc
	v_and_b32_e32 v1, 16, v46
	s_or_b64 exec, exec, s[34:35]
	v_cmp_ne_u32_e32 vcc, 0, v1
	s_and_saveexec_b64 s[34:35], vcc
	s_cbranch_execz .LBB8_893
.LBB8_890:                              ;   in Loop: Header=BB8_79 Depth=1
	s_and_saveexec_b64 vcc, s[18:19]
	s_cbranch_execz .LBB8_892
; %bb.891:                              ;   in Loop: Header=BB8_79 Depth=1
	flat_store_dword v[44:45], v58
.LBB8_892:                              ;   in Loop: Header=BB8_79 Depth=1
	s_or_b64 exec, exec, vcc
	v_add_co_u32_e32 v8, vcc, 1, v8
	v_addc_co_u32_e32 v9, vcc, 0, v9, vcc
	flat_store_dwordx2 v[22:23], v[8:9]
.LBB8_893:                              ;   in Loop: Header=BB8_79 Depth=1
	s_or_b64 exec, exec, s[34:35]
	v_mov_b32_e32 v1, v42
.LBB8_894:                              ;   in Loop: Header=BB8_79 Depth=1
	s_or_b64 exec, exec, s[42:43]
	s_mov_b64 vcc, s[38:39]
	s_mov_b64 s[42:43], s[36:37]
	s_and_saveexec_b64 s[34:35], s[30:31]
	s_cbranch_execz .LBB8_981
; %bb.895:                              ;   in Loop: Header=BB8_79 Depth=1
	v_and_b32_e32 v2, 8, v46
	v_cmp_ne_u32_e32 vcc, 0, v2
	s_mov_b64 s[42:43], -1
	s_and_saveexec_b64 s[30:31], vcc
	s_cbranch_execz .LBB8_907
; %bb.896:                              ;   in Loop: Header=BB8_79 Depth=1
	v_add_co_u32_e32 v12, vcc, 8, v34
	v_addc_co_u32_e32 v13, vcc, 0, v35, vcc
	v_add_co_u32_e32 v2, vcc, 1, v8
	v_addc_co_u32_e32 v3, vcc, 0, v9, vcc
	v_cmp_lt_u64_e32 vcc, v[12:13], v[2:3]
	v_mov_b32_e32 v10, 1
	s_and_saveexec_b64 s[42:43], vcc
	s_cbranch_execz .LBB8_906
; %bb.897:                              ;   in Loop: Header=BB8_79 Depth=1
	s_mov_b64 s[62:63], 0
	v_mov_b32_e32 v10, 0
                                        ; implicit-def: $sgpr64_sgpr65
	s_branch .LBB8_901
.LBB8_898:                              ;   in Loop: Header=BB8_901 Depth=2
	s_or_b64 exec, exec, s[72:73]
	v_mov_b32_e32 v12, 0
	s_orn2_b64 s[70:71], s[70:71], exec
.LBB8_899:                              ;   in Loop: Header=BB8_901 Depth=2
	s_or_b64 exec, exec, s[68:69]
	s_andn2_b64 vcc, s[64:65], exec
	s_and_b64 s[64:65], s[70:71], exec
	s_or_b64 s[64:65], vcc, s[64:65]
	v_mov_b32_e32 v10, v12
.LBB8_900:                              ;   in Loop: Header=BB8_901 Depth=2
	s_or_b64 exec, exec, s[66:67]
	s_waitcnt vmcnt(0) lgkmcnt(0)
	v_add_co_u32_e32 v12, vcc, 8, v34
	v_addc_co_u32_e32 v13, vcc, 0, v35, vcc
	v_cmp_ge_u64_e32 vcc, v[12:13], v[2:3]
	s_xor_b64 s[66:67], s[64:65], -1
	s_or_b64 vcc, s[66:67], vcc
	s_and_b64 vcc, exec, vcc
	s_or_b64 s[62:63], vcc, s[62:63]
	s_andn2_b64 exec, exec, s[62:63]
	s_cbranch_execz .LBB8_905
.LBB8_901:                              ;   Parent Loop BB8_79 Depth=1
                                        ; =>  This Inner Loop Header: Depth=2
	s_sleep 1
	flat_load_dwordx2 v[34:35], v[22:23] glc
	v_and_b32_e32 v11, 64, v46
	v_cmp_eq_u32_e32 vcc, 0, v11
	s_andn2_b64 s[64:65], s[64:65], exec
	s_and_saveexec_b64 s[66:67], vcc
	s_cbranch_execz .LBB8_900
; %bb.902:                              ;   in Loop: Header=BB8_901 Depth=2
	v_add_u32_e32 v12, 1, v10
	v_cmp_lt_i32_e32 vcc, s81, v10
	s_mov_b64 s[70:71], -1
	s_and_saveexec_b64 s[68:69], vcc
	s_cbranch_execz .LBB8_899
; %bb.903:                              ;   in Loop: Header=BB8_901 Depth=2
	s_trap 2
	ds_read_b64 v[12:13], v0
	s_waitcnt vmcnt(0) lgkmcnt(0)
	flat_load_dword v10, v[12:13] glc
	s_waitcnt vmcnt(0) lgkmcnt(0)
	buffer_invl2
	buffer_wbinvl1_vol
	v_cmp_ne_u32_e32 vcc, 0, v10
	s_and_saveexec_b64 s[72:73], vcc
	s_cbranch_execz .LBB8_898
; %bb.904:                              ;   in Loop: Header=BB8_901 Depth=2
	v_or_b32_e32 v46, 64, v46
	s_xor_b64 s[70:71], exec, -1
	ds_write_b32 v0, v10
	s_trap 2
	s_branch .LBB8_898
.LBB8_905:                              ;   in Loop: Header=BB8_79 Depth=1
	s_or_b64 exec, exec, s[62:63]
	v_and_b32_e32 v10, 8, v46
.LBB8_906:                              ;   in Loop: Header=BB8_79 Depth=1
	s_or_b64 exec, exec, s[42:43]
	v_cmp_eq_u32_e32 vcc, 0, v10
	s_orn2_b64 s[42:43], vcc, exec
	;;#ASMSTART
	s_wakeup
	;;#ASMEND
.LBB8_907:                              ;   in Loop: Header=BB8_79 Depth=1
	s_or_b64 exec, exec, s[30:31]
	v_sub_u32_e32 v1, v53, v1
	s_xor_b64 vcc, s[42:43], -1
	v_min_i32_e32 v2, v42, v1
	s_and_saveexec_b64 s[42:43], vcc
	s_cbranch_execz .LBB8_929
; %bb.908:                              ;   in Loop: Header=BB8_79 Depth=1
	v_and_b32_e32 v1, 0x100, v46
	v_cmp_ne_u32_e32 vcc, 0, v1
	v_and_b32_e32 v1, 7, v8
	s_mov_b64 s[30:31], -1
                                        ; implicit-def: $vgpr12_vgpr13
	s_and_saveexec_b64 s[62:63], vcc
	s_cbranch_execz .LBB8_912
; %bb.909:                              ;   in Loop: Header=BB8_79 Depth=1
	v_mad_u64_u32 v[14:15], vcc, v1, 24, v[6:7]
	flat_load_dword v10, v[14:15]
	v_ashrrev_i32_e32 v3, 31, v2
	flat_store_dwordx2 v[14:15], v[2:3] offset:8
                                        ; implicit-def: $vgpr12_vgpr13
	s_waitcnt vmcnt(0) lgkmcnt(0)
	v_cmp_ne_u32_e32 vcc, 1, v10
	v_cmp_eq_u32_e64 s[30:31], 1, v10
	s_and_saveexec_b64 s[64:65], s[30:31]
	s_cbranch_execz .LBB8_911
; %bb.910:                              ;   in Loop: Header=BB8_79 Depth=1
	flat_load_dword v12, v[14:15] offset:4 glc
	s_waitcnt vmcnt(0) lgkmcnt(0)
	v_ashrrev_i32_e32 v13, 31, v12
.LBB8_911:                              ;   in Loop: Header=BB8_79 Depth=1
	s_or_b64 exec, exec, s[64:65]
	s_orn2_b64 s[30:31], vcc, exec
.LBB8_912:                              ;   in Loop: Header=BB8_79 Depth=1
	s_or_b64 exec, exec, s[62:63]
	s_and_saveexec_b64 vcc, s[30:31]
; %bb.913:                              ;   in Loop: Header=BB8_79 Depth=1
	v_mad_i64_i32 v[12:13], s[30:31], v1, v52, 0
; %bb.914:                              ;   in Loop: Header=BB8_79 Depth=1
	s_or_b64 exec, exec, vcc
	v_add_co_u32_e32 v12, vcc, v32, v12
	v_addc_co_u32_e32 v13, vcc, v33, v13, vcc
	v_and_b32_e32 v1, 0x2000, v46
	v_cmp_ne_u32_e32 vcc, 0, v1
	ds_write_b64 v0, v[12:13] offset:784
	s_and_saveexec_b64 s[30:31], vcc
	s_cbranch_execz .LBB8_916
; %bb.915:                              ;   in Loop: Header=BB8_79 Depth=1
	ds_read_b64 v[12:13], v0 offset:584
	s_waitcnt lgkmcnt(0)
	v_add_co_u32_e32 v12, vcc, 1, v12
	v_addc_co_u32_e32 v13, vcc, 0, v13, vcc
	ds_write_b64 v0, v[12:13] offset:584
.LBB8_916:                              ;   in Loop: Header=BB8_79 Depth=1
	s_or_b64 exec, exec, s[30:31]
	v_add_co_u32_e32 v8, vcc, 1, v8
	v_addc_co_u32_e32 v9, vcc, 0, v9, vcc
	s_or_b64 exec, exec, s[42:43]
	s_and_saveexec_b64 s[30:31], s[14:15]
	s_cbranch_execnz .LBB8_930
.LBB8_917:                              ;   in Loop: Header=BB8_79 Depth=1
	s_or_b64 exec, exec, s[30:31]
                                        ; implicit-def: $vgpr1
	s_and_saveexec_b64 vcc, s[56:57]
	s_xor_b64 s[30:31], exec, vcc
	s_cbranch_execz .LBB8_974
.LBB8_918:                              ;   in Loop: Header=BB8_79 Depth=1
	s_and_saveexec_b64 vcc, s[52:53]
	s_xor_b64 s[42:43], exec, vcc
	s_cbranch_execz .LBB8_964
; %bb.919:                              ;   in Loop: Header=BB8_79 Depth=1
	s_and_saveexec_b64 s[62:63], s[20:21]
	s_cbranch_execz .LBB8_963
; %bb.920:                              ;   in Loop: Header=BB8_79 Depth=1
	s_mov_b64 s[66:67], exec
	v_mbcnt_lo_u32_b32 v1, s66, 0
	v_mbcnt_hi_u32_b32 v1, s67, v1
	v_cmp_eq_u32_e32 vcc, 0, v1
	;;#ASMSTART
	s_waitcnt lgkmcnt(0) vmcnt(0)
	;;#ASMEND
	s_and_saveexec_b64 s[64:65], vcc
	s_cbranch_execz .LBB8_922
; %bb.921:                              ;   in Loop: Header=BB8_79 Depth=1
	s_bcnt1_i32_b64 vcc_lo, s[66:67]
	v_mov_b32_e32 v2, vcc_lo
	v_mov_b32_e32 v3, v36
	ds_add_u64 v0, v[2:3]
	s_trap 2
.LBB8_922:                              ;   in Loop: Header=BB8_79 Depth=1
	s_or_b64 exec, exec, s[64:65]
	s_trap 2
	ds_read_b64 v[2:3], v0
	v_add_co_u32_e32 v28, vcc, v28, v30
	v_addc_co_u32_e32 v29, vcc, 0, v29, vcc
	s_waitcnt lgkmcnt(0)
	v_cmp_lt_u64_e32 vcc, v[2:3], v[28:29]
	s_and_saveexec_b64 s[64:65], vcc
	s_cbranch_execz .LBB8_962
; %bb.923:                              ;   in Loop: Header=BB8_79 Depth=1
	s_mov_b32 s76, 0
	s_mov_b64 s[66:67], 0
                                        ; implicit-def: $sgpr68_sgpr69
                                        ; implicit-def: $sgpr70_sgpr71
	s_branch .LBB8_925
.LBB8_924:                              ;   in Loop: Header=BB8_925 Depth=2
	s_or_b64 exec, exec, s[74:75]
	s_and_b64 vcc, exec, vcc
	s_or_b64 s[66:67], vcc, s[66:67]
	s_andn2_b64 vcc, s[68:69], exec
	s_and_b64 s[68:69], s[70:71], exec
	s_or_b64 s[68:69], vcc, s[68:69]
	s_andn2_b64 exec, exec, s[66:67]
	s_cbranch_execz .LBB8_960
.LBB8_925:                              ;   Parent Loop BB8_79 Depth=1
                                        ; =>  This Inner Loop Header: Depth=2
	s_add_i32 s76, s76, 1
	s_cmpk_lg_i32 s76, 0x2710
	s_cselect_b64 s[72:73], -1, 0
	s_and_b64 vcc, exec, s[72:73]
                                        ; implicit-def: $sgpr74_sgpr75
	s_cbranch_vccnz .LBB8_927
; %bb.926:                              ;   in Loop: Header=BB8_925 Depth=2
	s_trap 2
	ds_read_b64 v[2:3], v0
	s_andn2_b64 s[72:73], s[72:73], exec
	s_mov_b32 s76, 0
	s_mov_b64 s[74:75], -1
	s_waitcnt vmcnt(0) lgkmcnt(0)
	flat_load_dword v1, v[2:3] glc
	s_waitcnt vmcnt(0) lgkmcnt(0)
	buffer_invl2
	buffer_wbinvl1_vol
	v_cmp_eq_u32_e32 vcc, 0, v1
	s_and_b64 vcc, vcc, exec
	s_or_b64 s[72:73], s[72:73], vcc
.LBB8_927:                              ;   in Loop: Header=BB8_925 Depth=2
	s_andn2_b64 s[70:71], s[70:71], exec
	s_and_b64 s[74:75], s[74:75], exec
	s_mov_b64 vcc, -1
	s_or_b64 s[70:71], s[70:71], s[74:75]
	s_and_saveexec_b64 s[74:75], s[72:73]
	s_cbranch_execz .LBB8_924
; %bb.928:                              ;   in Loop: Header=BB8_925 Depth=2
	s_sleep 1
	s_trap 2
	ds_read_b64 v[2:3], v0
	s_andn2_b64 s[70:71], s[70:71], exec
	s_waitcnt lgkmcnt(0)
	v_cmp_ge_u64_e32 vcc, v[2:3], v[28:29]
	s_orn2_b64 vcc, vcc, exec
	s_branch .LBB8_924
.LBB8_929:                              ;   in Loop: Header=BB8_79 Depth=1
	s_or_b64 exec, exec, s[42:43]
	s_and_saveexec_b64 s[30:31], s[14:15]
	s_cbranch_execz .LBB8_917
.LBB8_930:                              ;   in Loop: Header=BB8_79 Depth=1
	s_and_saveexec_b64 vcc, s[52:53]
	s_xor_b64 s[42:43], exec, vcc
	s_cbranch_execz .LBB8_971
; %bb.931:                              ;   in Loop: Header=BB8_79 Depth=1
	s_and_saveexec_b64 s[62:63], s[20:21]
	s_cbranch_execz .LBB8_970
; %bb.932:                              ;   in Loop: Header=BB8_79 Depth=1
	s_mov_b64 s[66:67], exec
	v_mbcnt_lo_u32_b32 v1, s66, 0
	v_mbcnt_hi_u32_b32 v1, s67, v1
	v_cmp_eq_u32_e32 vcc, 0, v1
	s_waitcnt vmcnt(0) lgkmcnt(0)
	buffer_wbinvl1_vol
	s_and_saveexec_b64 s[64:65], vcc
	s_cbranch_execz .LBB8_934
; %bb.933:                              ;   in Loop: Header=BB8_79 Depth=1
	s_bcnt1_i32_b64 vcc_lo, s[66:67]
	v_mov_b32_e32 v12, vcc_lo
	v_mov_b32_e32 v13, v36
	ds_add_u64 v0, v[12:13]
	s_trap 2
.LBB8_934:                              ;   in Loop: Header=BB8_79 Depth=1
	s_or_b64 exec, exec, s[64:65]
	s_trap 2
	ds_read_b64 v[12:13], v0
	v_add_co_u32_e32 v28, vcc, v28, v30
	v_addc_co_u32_e32 v29, vcc, 0, v29, vcc
	s_waitcnt lgkmcnt(0)
	v_cmp_lt_u64_e32 vcc, v[12:13], v[28:29]
	s_and_saveexec_b64 s[64:65], vcc
	s_cbranch_execz .LBB8_969
; %bb.935:                              ;   in Loop: Header=BB8_79 Depth=1
	s_mov_b32 s76, 0
	s_mov_b64 s[66:67], 0
                                        ; implicit-def: $sgpr68_sgpr69
                                        ; implicit-def: $sgpr70_sgpr71
	s_branch .LBB8_937
.LBB8_936:                              ;   in Loop: Header=BB8_937 Depth=2
	s_or_b64 exec, exec, s[74:75]
	s_and_b64 vcc, exec, vcc
	s_or_b64 s[66:67], vcc, s[66:67]
	s_andn2_b64 vcc, s[68:69], exec
	s_and_b64 s[68:69], s[70:71], exec
	s_or_b64 s[68:69], vcc, s[68:69]
	s_andn2_b64 exec, exec, s[66:67]
	s_cbranch_execz .LBB8_967
.LBB8_937:                              ;   Parent Loop BB8_79 Depth=1
                                        ; =>  This Inner Loop Header: Depth=2
	s_add_i32 s76, s76, 1
	s_cmpk_lg_i32 s76, 0x2710
	s_cselect_b64 s[72:73], -1, 0
	s_and_b64 vcc, exec, s[72:73]
                                        ; implicit-def: $sgpr74_sgpr75
	s_cbranch_vccnz .LBB8_939
; %bb.938:                              ;   in Loop: Header=BB8_937 Depth=2
	s_trap 2
	ds_read_b64 v[12:13], v0
	s_andn2_b64 s[72:73], s[72:73], exec
	s_mov_b32 s76, 0
	s_mov_b64 s[74:75], -1
	s_waitcnt lgkmcnt(0)
	flat_load_dword v1, v[12:13] glc
	s_waitcnt vmcnt(0) lgkmcnt(0)
	buffer_invl2
	buffer_wbinvl1_vol
	v_cmp_eq_u32_e32 vcc, 0, v1
	s_and_b64 vcc, vcc, exec
	s_or_b64 s[72:73], s[72:73], vcc
.LBB8_939:                              ;   in Loop: Header=BB8_937 Depth=2
	s_andn2_b64 s[70:71], s[70:71], exec
	s_and_b64 s[74:75], s[74:75], exec
	s_mov_b64 vcc, -1
	s_or_b64 s[70:71], s[70:71], s[74:75]
	s_and_saveexec_b64 s[74:75], s[72:73]
	s_cbranch_execz .LBB8_936
; %bb.940:                              ;   in Loop: Header=BB8_937 Depth=2
	s_sleep 1
	s_trap 2
	ds_read_b64 v[12:13], v0
	s_andn2_b64 s[70:71], s[70:71], exec
	s_waitcnt lgkmcnt(0)
	v_cmp_ge_u64_e32 vcc, v[12:13], v[28:29]
	s_orn2_b64 vcc, vcc, exec
	s_branch .LBB8_936
.LBB8_941:                              ;   in Loop: Header=BB8_79 Depth=1
	s_or_b64 exec, exec, s[66:67]
	s_and_saveexec_b64 vcc, s[68:69]
	s_xor_b64 vcc, exec, vcc
	s_cbranch_execz .LBB8_943
; %bb.942:                              ;   in Loop: Header=BB8_79 Depth=1
	ds_write_b32 v0, v58
	s_trap 2
.LBB8_943:                              ;   in Loop: Header=BB8_79 Depth=1
	s_or_b64 exec, exec, s[64:65]
	;;#ASMSTART
	s_wakeup
	;;#ASMEND
.LBB8_944:                              ;   in Loop: Header=BB8_79 Depth=1
	s_or_b64 exec, exec, s[62:63]
.LBB8_945:                              ;   in Loop: Header=BB8_79 Depth=1
	s_andn2_saveexec_b64 vcc, s[58:59]
	s_cbranch_execz .LBB8_947
; %bb.946:                              ;   in Loop: Header=BB8_79 Depth=1
	s_waitcnt vmcnt(0) lgkmcnt(0)
	buffer_wbinvl1_vol
	s_barrier
.LBB8_947:                              ;   in Loop: Header=BB8_79 Depth=1
	s_or_b64 exec, exec, vcc
	s_or_b64 exec, exec, s[36:37]
	s_and_saveexec_b64 vcc, s[28:29]
	s_xor_b64 s[36:37], exec, vcc
	s_cbranch_execnz .LBB8_866
.LBB8_948:                              ;   in Loop: Header=BB8_79 Depth=1
	s_andn2_saveexec_b64 s[36:37], s[36:37]
	s_cbranch_execz .LBB8_992
.LBB8_949:                              ;   in Loop: Header=BB8_79 Depth=1
	s_and_saveexec_b64 vcc, s[52:53]
	s_xor_b64 s[58:59], exec, vcc
	s_cbranch_execz .LBB8_989
; %bb.950:                              ;   in Loop: Header=BB8_79 Depth=1
	s_and_saveexec_b64 s[62:63], s[20:21]
	s_cbranch_execz .LBB8_988
; %bb.951:                              ;   in Loop: Header=BB8_79 Depth=1
	s_mov_b64 s[66:67], exec
	v_mbcnt_lo_u32_b32 v1, s66, 0
	v_mbcnt_hi_u32_b32 v1, s67, v1
	v_cmp_eq_u32_e32 vcc, 0, v1
	;;#ASMSTART
	s_waitcnt lgkmcnt(0) vmcnt(0)
	;;#ASMEND
	s_and_saveexec_b64 s[64:65], vcc
	s_cbranch_execz .LBB8_953
; %bb.952:                              ;   in Loop: Header=BB8_79 Depth=1
	s_bcnt1_i32_b64 vcc_lo, s[66:67]
	v_mov_b32_e32 v2, vcc_lo
	v_mov_b32_e32 v3, v36
	ds_add_u64 v0, v[2:3]
	s_trap 2
.LBB8_953:                              ;   in Loop: Header=BB8_79 Depth=1
	s_or_b64 exec, exec, s[64:65]
	s_trap 2
	ds_read_b64 v[2:3], v0
	v_add_co_u32_e32 v28, vcc, v28, v30
	v_addc_co_u32_e32 v29, vcc, 0, v29, vcc
	s_waitcnt lgkmcnt(0)
	v_cmp_lt_u64_e32 vcc, v[2:3], v[28:29]
	s_and_saveexec_b64 s[64:65], vcc
	s_cbranch_execz .LBB8_987
; %bb.954:                              ;   in Loop: Header=BB8_79 Depth=1
	s_mov_b32 s76, 0
	s_mov_b64 s[66:67], 0
                                        ; implicit-def: $sgpr68_sgpr69
                                        ; implicit-def: $sgpr70_sgpr71
	s_branch .LBB8_956
.LBB8_955:                              ;   in Loop: Header=BB8_956 Depth=2
	s_or_b64 exec, exec, s[74:75]
	s_and_b64 vcc, exec, vcc
	s_or_b64 s[66:67], vcc, s[66:67]
	s_andn2_b64 vcc, s[68:69], exec
	s_and_b64 s[68:69], s[70:71], exec
	s_or_b64 s[68:69], vcc, s[68:69]
	s_andn2_b64 exec, exec, s[66:67]
	s_cbranch_execz .LBB8_985
.LBB8_956:                              ;   Parent Loop BB8_79 Depth=1
                                        ; =>  This Inner Loop Header: Depth=2
	s_add_i32 s76, s76, 1
	s_cmpk_lg_i32 s76, 0x2710
	s_cselect_b64 s[72:73], -1, 0
	s_and_b64 vcc, exec, s[72:73]
                                        ; implicit-def: $sgpr74_sgpr75
	s_cbranch_vccnz .LBB8_958
; %bb.957:                              ;   in Loop: Header=BB8_956 Depth=2
	s_trap 2
	ds_read_b64 v[2:3], v0
	s_andn2_b64 s[72:73], s[72:73], exec
	s_mov_b32 s76, 0
	s_mov_b64 s[74:75], -1
	s_waitcnt vmcnt(0) lgkmcnt(0)
	flat_load_dword v1, v[2:3] glc
	s_waitcnt vmcnt(0) lgkmcnt(0)
	buffer_invl2
	buffer_wbinvl1_vol
	v_cmp_eq_u32_e32 vcc, 0, v1
	s_and_b64 vcc, vcc, exec
	s_or_b64 s[72:73], s[72:73], vcc
.LBB8_958:                              ;   in Loop: Header=BB8_956 Depth=2
	s_andn2_b64 s[70:71], s[70:71], exec
	s_and_b64 s[74:75], s[74:75], exec
	s_mov_b64 vcc, -1
	s_or_b64 s[70:71], s[70:71], s[74:75]
	s_and_saveexec_b64 s[74:75], s[72:73]
	s_cbranch_execz .LBB8_955
; %bb.959:                              ;   in Loop: Header=BB8_956 Depth=2
	s_sleep 1
	s_trap 2
	ds_read_b64 v[2:3], v0
	s_andn2_b64 s[70:71], s[70:71], exec
	s_waitcnt lgkmcnt(0)
	v_cmp_ge_u64_e32 vcc, v[2:3], v[28:29]
	s_orn2_b64 vcc, vcc, exec
	s_branch .LBB8_955
.LBB8_960:                              ;   in Loop: Header=BB8_79 Depth=1
	s_or_b64 exec, exec, s[66:67]
	s_and_saveexec_b64 vcc, s[68:69]
	s_xor_b64 vcc, exec, vcc
	s_cbranch_execz .LBB8_962
; %bb.961:                              ;   in Loop: Header=BB8_79 Depth=1
	ds_write_b32 v0, v58
	s_trap 2
.LBB8_962:                              ;   in Loop: Header=BB8_79 Depth=1
	s_or_b64 exec, exec, s[64:65]
	;;#ASMSTART
	s_wakeup
	;;#ASMEND
.LBB8_963:                              ;   in Loop: Header=BB8_79 Depth=1
	s_or_b64 exec, exec, s[62:63]
.LBB8_964:                              ;   in Loop: Header=BB8_79 Depth=1
	s_andn2_saveexec_b64 vcc, s[42:43]
	s_cbranch_execz .LBB8_966
; %bb.965:                              ;   in Loop: Header=BB8_79 Depth=1
	;;#ASMSTART
	s_waitcnt lgkmcnt(0) vmcnt(0)
	;;#ASMEND
	s_barrier
.LBB8_966:                              ;   in Loop: Header=BB8_79 Depth=1
	s_or_b64 exec, exec, vcc
	v_and_b32_e32 v1, 16, v46
                                        ; implicit-def: $vgpr2
	s_andn2_saveexec_b64 s[30:31], s[30:31]
	s_cbranch_execz .LBB8_978
	s_branch .LBB8_975
.LBB8_967:                              ;   in Loop: Header=BB8_79 Depth=1
	s_or_b64 exec, exec, s[66:67]
	s_and_saveexec_b64 vcc, s[68:69]
	s_xor_b64 vcc, exec, vcc
	s_cbranch_execz .LBB8_969
; %bb.968:                              ;   in Loop: Header=BB8_79 Depth=1
	ds_write_b32 v0, v58
	s_trap 2
.LBB8_969:                              ;   in Loop: Header=BB8_79 Depth=1
	s_or_b64 exec, exec, s[64:65]
	;;#ASMSTART
	s_wakeup
	;;#ASMEND
.LBB8_970:                              ;   in Loop: Header=BB8_79 Depth=1
	s_or_b64 exec, exec, s[62:63]
.LBB8_971:                              ;   in Loop: Header=BB8_79 Depth=1
	s_andn2_saveexec_b64 vcc, s[42:43]
	s_cbranch_execz .LBB8_973
; %bb.972:                              ;   in Loop: Header=BB8_79 Depth=1
	s_waitcnt vmcnt(0) lgkmcnt(0)
	buffer_wbinvl1_vol
	s_barrier
.LBB8_973:                              ;   in Loop: Header=BB8_79 Depth=1
	s_or_b64 exec, exec, vcc
	s_or_b64 exec, exec, s[30:31]
                                        ; implicit-def: $vgpr1
	s_and_saveexec_b64 vcc, s[56:57]
	s_xor_b64 s[30:31], exec, vcc
	s_cbranch_execnz .LBB8_918
.LBB8_974:                              ;   in Loop: Header=BB8_79 Depth=1
	s_andn2_saveexec_b64 s[30:31], s[30:31]
	s_cbranch_execz .LBB8_978
.LBB8_975:                              ;   in Loop: Header=BB8_79 Depth=1
	s_trap 2
	ds_read_b32 v3, v0
	v_cmp_lt_i32_e32 vcc, 0, v2
	v_and_b32_e32 v2, 16, v46
	v_and_b32_e32 v1, 16, v46
	s_waitcnt lgkmcnt(0)
	v_readfirstlane_b32 s42, v3
	s_cmp_eq_u32 s42, 0
	s_cselect_b64 s[42:43], -1, 0
	s_and_b64 s[42:43], vcc, s[42:43]
	v_cmp_ne_u32_e32 vcc, 0, v2
	s_and_b64 s[42:43], vcc, s[42:43]
	s_and_saveexec_b64 vcc, s[42:43]
	s_cbranch_execz .LBB8_977
; %bb.976:                              ;   in Loop: Header=BB8_79 Depth=1
	v_mov_b32_e32 v1, 1
	s_waitcnt vmcnt(0)
	buffer_wbinvl1_vol
.LBB8_977:                              ;   in Loop: Header=BB8_79 Depth=1
	s_or_b64 exec, exec, vcc
.LBB8_978:                              ;   in Loop: Header=BB8_79 Depth=1
	s_or_b64 exec, exec, s[30:31]
	v_cmp_ne_u32_e32 vcc, 0, v1
	s_mov_b64 s[30:31], s[38:39]
	s_mov_b64 s[42:43], s[36:37]
	s_and_saveexec_b64 s[62:63], vcc
; %bb.979:                              ;   in Loop: Header=BB8_79 Depth=1
	s_andn2_b64 vcc, s[36:37], exec
	s_and_b64 s[30:31], s[16:17], exec
	s_or_b64 s[42:43], vcc, s[30:31]
	s_andn2_b64 vcc, s[38:39], exec
	s_and_b64 s[30:31], s[18:19], exec
	s_or_b64 s[30:31], vcc, s[30:31]
; %bb.980:                              ;   in Loop: Header=BB8_79 Depth=1
	s_or_b64 exec, exec, s[62:63]
	s_andn2_b64 vcc, s[36:37], exec
	s_and_b64 s[42:43], s[42:43], exec
	s_or_b64 s[42:43], vcc, s[42:43]
	s_andn2_b64 vcc, s[38:39], exec
	s_and_b64 s[30:31], s[30:31], exec
	s_or_b64 vcc, vcc, s[30:31]
.LBB8_981:                              ;   in Loop: Header=BB8_79 Depth=1
	s_or_b64 exec, exec, s[34:35]
	s_andn2_b64 s[30:31], s[36:37], exec
	s_and_b64 s[34:35], s[42:43], exec
	s_or_b64 s[36:37], s[30:31], s[34:35]
	s_andn2_b64 s[30:31], s[38:39], exec
	s_and_b64 vcc, vcc, exec
	s_or_b64 s[38:39], s[30:31], vcc
.LBB8_982:                              ;   in Loop: Header=BB8_79 Depth=1
	s_or_b64 exec, exec, s[40:41]
	s_and_saveexec_b64 vcc, s[38:39]
	s_cbranch_execz .LBB8_984
; %bb.983:                              ;   in Loop: Header=BB8_79 Depth=1
	s_or_b64 s[36:37], s[36:37], exec
	flat_store_dword v[44:45], v58
.LBB8_984:                              ;   in Loop: Header=BB8_79 Depth=1
	s_or_b64 exec, exec, vcc
	s_andn2_b64 vcc, s[58:59], exec
	s_and_b64 s[30:31], s[36:37], exec
	s_or_b64 s[58:59], vcc, s[30:31]
	s_or_b64 exec, exec, s[60:61]
	s_and_saveexec_b64 s[30:31], s[58:59]
	s_cbranch_execz .LBB8_78
	s_branch .LBB8_996
.LBB8_985:                              ;   in Loop: Header=BB8_79 Depth=1
	s_or_b64 exec, exec, s[66:67]
	s_and_saveexec_b64 vcc, s[68:69]
	s_xor_b64 vcc, exec, vcc
	s_cbranch_execz .LBB8_987
; %bb.986:                              ;   in Loop: Header=BB8_79 Depth=1
	ds_write_b32 v0, v58
	s_trap 2
.LBB8_987:                              ;   in Loop: Header=BB8_79 Depth=1
	s_or_b64 exec, exec, s[64:65]
	;;#ASMSTART
	s_wakeup
	;;#ASMEND
.LBB8_988:                              ;   in Loop: Header=BB8_79 Depth=1
	s_or_b64 exec, exec, s[62:63]
.LBB8_989:                              ;   in Loop: Header=BB8_79 Depth=1
	s_andn2_saveexec_b64 vcc, s[58:59]
	s_cbranch_execz .LBB8_991
; %bb.990:                              ;   in Loop: Header=BB8_79 Depth=1
	;;#ASMSTART
	s_waitcnt lgkmcnt(0) vmcnt(0)
	;;#ASMEND
	s_barrier
.LBB8_991:                              ;   in Loop: Header=BB8_79 Depth=1
	s_or_b64 exec, exec, vcc
.LBB8_992:                              ;   in Loop: Header=BB8_79 Depth=1
	s_or_b64 exec, exec, s[36:37]
	v_and_b32_e32 v1, 32, v46
	v_cmp_ne_u32_e32 vcc, 0, v1
	s_andn2_b64 s[36:37], s[38:39], exec
	s_and_b64 vcc, vcc, exec
	s_or_b64 vcc, s[36:37], vcc
.LBB8_993:                              ;   in Loop: Header=BB8_79 Depth=1
	s_or_b64 exec, exec, s[42:43]
	s_andn2_b64 s[36:37], s[38:39], exec
	s_and_b64 vcc, vcc, exec
	s_or_b64 s[38:39], s[36:37], vcc
.LBB8_994:                              ;   in Loop: Header=BB8_79 Depth=1
	s_or_b64 exec, exec, s[40:41]
	s_and_b64 s[58:59], s[38:39], exec
                                        ; implicit-def: $vgpr42
                                        ; implicit-def: $vgpr53
                                        ; implicit-def: $vgpr2
                                        ; implicit-def: $vgpr3
	s_andn2_saveexec_b64 s[60:61], s[60:61]
	s_cbranch_execnz .LBB8_88
.LBB8_995:                              ;   in Loop: Header=BB8_79 Depth=1
	s_or_b64 exec, exec, s[60:61]
	s_and_saveexec_b64 s[30:31], s[58:59]
	s_cbranch_execz .LBB8_78
.LBB8_996:                              ;   in Loop: Header=BB8_79 Depth=1
	v_add_co_u32_e32 v8, vcc, 1, v8
	v_addc_co_u32_e32 v9, vcc, 0, v9, vcc
	flat_store_dwordx2 v[22:23], v[8:9]
	s_branch .LBB8_78
.LBB8_997:
	s_or_b64 exec, exec, s[50:51]
	v_accvgpr_read_b32 v49, a5
	v_accvgpr_read_b32 v31, a0
	v_accvgpr_read_b32 v30, a1
	v_accvgpr_read_b32 v48, a4
.LBB8_998:
	s_or_b64 exec, exec, s[48:49]
	v_and_b32_e32 v0, 0x800, v46
	v_cmp_eq_u32_e32 vcc, 0, v0
	s_and_saveexec_b64 s[4:5], vcc
	s_cbranch_execz .LBB8_1033
; %bb.999:
	v_and_b32_e32 v0, 48, v46
	v_cmp_ne_u32_e32 vcc, 0, v0
	s_and_saveexec_b64 s[6:7], vcc
	s_cbranch_execz .LBB8_1001
; %bb.1000:
	s_waitcnt lgkmcnt(0)
	flat_store_dwordx2 v[48:49], v[8:9] offset:104
.LBB8_1001:
	s_or_b64 exec, exec, s[6:7]
	s_movk_i32 s6, 0x88
	v_and_b32_e32 v0, 0x88, v46
	v_cmp_eq_u32_e32 vcc, s6, v0
	s_and_saveexec_b64 s[6:7], vcc
	s_cbranch_execz .LBB8_1013
; %bb.1002:
	s_waitcnt lgkmcnt(0)
	v_add_u32_e32 v0, -1, v8
	v_and_b32_e32 v0, 7, v0
	v_mad_u64_u32 v[0:1], s[10:11], v0, 24, v[6:7]
	v_add_co_u32_e32 v0, vcc, 8, v0
	v_addc_co_u32_e32 v1, vcc, 0, v1, vcc
	s_mov_b64 s[10:11], 0
	v_mov_b32_e32 v2, 0
	s_movk_i32 s24, 0x270e
                                        ; implicit-def: $sgpr12_sgpr13
	s_branch .LBB8_1007
.LBB8_1003:                             ;   in Loop: Header=BB8_1007 Depth=1
	s_or_b64 exec, exec, s[22:23]
	v_mov_b32_e32 v3, 0
	s_orn2_b64 s[20:21], s[20:21], exec
.LBB8_1004:                             ;   in Loop: Header=BB8_1007 Depth=1
	s_or_b64 exec, exec, s[18:19]
	s_and_b64 s[18:19], s[20:21], exec
	v_mov_b32_e32 v2, v3
.LBB8_1005:                             ;   in Loop: Header=BB8_1007 Depth=1
	s_or_b64 exec, exec, s[16:17]
	s_xor_b64 s[16:17], s[18:19], -1
	s_andn2_b64 s[12:13], s[12:13], exec
	s_and_b64 s[16:17], s[16:17], exec
	s_or_b64 s[12:13], s[12:13], s[16:17]
.LBB8_1006:                             ;   in Loop: Header=BB8_1007 Depth=1
	s_or_b64 exec, exec, s[14:15]
	s_and_b64 s[14:15], exec, s[12:13]
	s_or_b64 s[10:11], s[14:15], s[10:11]
	s_andn2_b64 exec, exec, s[10:11]
	s_cbranch_execz .LBB8_1012
.LBB8_1007:                             ; =>This Inner Loop Header: Depth=1
	flat_load_dwordx2 v[4:5], v[0:1] glc
	s_waitcnt vmcnt(0)
	s_or_b64 s[12:13], s[12:13], exec
	s_waitcnt lgkmcnt(0)
	v_cmp_ne_u64_e32 vcc, -1, v[4:5]
	s_and_saveexec_b64 s[14:15], vcc
	s_cbranch_execz .LBB8_1006
; %bb.1008:                             ;   in Loop: Header=BB8_1007 Depth=1
	v_and_b32_e32 v3, 64, v46
	v_cmp_eq_u32_e32 vcc, 0, v3
	s_mov_b64 s[18:19], 0
	s_and_saveexec_b64 s[16:17], vcc
	s_cbranch_execz .LBB8_1005
; %bb.1009:                             ;   in Loop: Header=BB8_1007 Depth=1
	v_add_u32_e32 v3, 1, v2
	v_cmp_lt_i32_e32 vcc, s24, v2
	s_mov_b64 s[20:21], -1
	s_and_saveexec_b64 s[18:19], vcc
	s_cbranch_execz .LBB8_1004
; %bb.1010:                             ;   in Loop: Header=BB8_1007 Depth=1
	s_trap 2
	ds_read_b64 v[2:3], v0
	s_waitcnt lgkmcnt(0)
	flat_load_dword v2, v[2:3] glc
	s_waitcnt vmcnt(0) lgkmcnt(0)
	buffer_invl2
	buffer_wbinvl1_vol
	v_cmp_ne_u32_e32 vcc, 0, v2
	s_and_saveexec_b64 s[22:23], vcc
	s_cbranch_execz .LBB8_1003
; %bb.1011:                             ;   in Loop: Header=BB8_1007 Depth=1
	v_or_b32_e32 v46, 64, v46
	s_xor_b64 s[20:21], exec, -1
	ds_write_b32 v0, v2
	s_trap 2
	s_branch .LBB8_1003
.LBB8_1012:
	s_or_b64 exec, exec, s[10:11]
.LBB8_1013:
	s_or_b64 exec, exec, s[6:7]
	v_and_b32_e32 v0, 0x2000, v46
	v_cmp_ne_u32_e32 vcc, 0, v0
	s_and_saveexec_b64 s[6:7], vcc
	s_cbranch_execz .LBB8_1015
; %bb.1014:
	s_trap 2
	ds_read_b64 v[0:1], v0
	v_accvgpr_read_b32 v2, a2
	v_accvgpr_read_b32 v3, a3
	s_waitcnt lgkmcnt(0)
	flat_store_dwordx2 v[2:3], v[0:1] offset:16
.LBB8_1015:
	s_or_b64 exec, exec, s[6:7]
	v_cmp_ne_u32_e32 vcc, 64, v21
	s_and_b64 exec, exec, vcc
	s_cbranch_execz .LBB8_1033
; %bb.1016:
	v_cmp_ne_u32_sdwa s[6:7], v21, v30 src0_sel:DWORD src1_sel:WORD_0
	s_and_saveexec_b64 s[10:11], s[6:7]
	s_xor_b64 s[6:7], exec, s[10:11]
	s_cbranch_execz .LBB8_1031
; %bb.1017:
	v_and_b32_e32 v0, 63, v31
	v_cmp_eq_u32_e32 vcc, 0, v0
	s_and_saveexec_b64 s[10:11], vcc
	s_cbranch_execz .LBB8_1030
; %bb.1018:
	s_mov_b64 s[14:15], exec
	v_mbcnt_lo_u32_b32 v0, s14, 0
	v_mbcnt_hi_u32_b32 v0, s15, v0
	v_cmp_eq_u32_e32 vcc, 0, v0
	s_waitcnt vmcnt(0) lgkmcnt(0)
	buffer_wbinvl1_vol
	s_and_saveexec_b64 s[12:13], vcc
	s_cbranch_execz .LBB8_1020
; %bb.1019:
	s_bcnt1_i32_b64 s14, s[14:15]
	v_mov_b32_e32 v0, s14
	v_mov_b32_e32 v1, 0
	ds_add_u64 v0, v[0:1]
	s_trap 2
.LBB8_1020:
	s_or_b64 exec, exec, s[12:13]
	v_ashrrev_i32_e32 v0, 31, v21
	v_lshrrev_b32_e32 v0, 26, v0
	v_add_u32_e32 v0, v21, v0
	v_ashrrev_i32_e32 v0, 6, v0
	s_trap 2
	ds_read_b64 v[2:3], v0
	v_ashrrev_i32_e32 v1, 31, v0
	v_add_co_u32_e32 v0, vcc, v28, v0
	v_addc_co_u32_e32 v1, vcc, v29, v1, vcc
	s_waitcnt lgkmcnt(0)
	v_cmp_lt_u64_e32 vcc, v[2:3], v[0:1]
	s_and_saveexec_b64 s[12:13], vcc
	s_cbranch_execz .LBB8_1029
; %bb.1021:
	s_mov_b32 s26, 0
	s_mov_b64 s[14:15], 0
                                        ; implicit-def: $sgpr16_sgpr17
                                        ; implicit-def: $sgpr18_sgpr19
	s_branch .LBB8_1023
.LBB8_1022:                             ;   in Loop: Header=BB8_1023 Depth=1
	s_or_b64 exec, exec, s[24:25]
	s_and_b64 s[20:21], exec, s[22:23]
	s_or_b64 s[14:15], s[20:21], s[14:15]
	s_andn2_b64 s[16:17], s[16:17], exec
	s_and_b64 s[20:21], s[18:19], exec
	s_or_b64 s[16:17], s[16:17], s[20:21]
	s_andn2_b64 exec, exec, s[14:15]
	s_cbranch_execz .LBB8_1027
.LBB8_1023:                             ; =>This Inner Loop Header: Depth=1
	s_add_i32 s26, s26, 1
	s_cmpk_lg_i32 s26, 0x2710
	s_cselect_b64 s[20:21], -1, 0
	s_and_b64 vcc, exec, s[20:21]
                                        ; implicit-def: $sgpr24_sgpr25
	s_cbranch_vccnz .LBB8_1025
; %bb.1024:                             ;   in Loop: Header=BB8_1023 Depth=1
	s_trap 2
	ds_read_b64 v[2:3], v0
	s_andn2_b64 s[20:21], s[20:21], exec
	s_mov_b32 s26, 0
	s_mov_b64 s[24:25], -1
	s_waitcnt lgkmcnt(0)
	flat_load_dword v2, v[2:3] glc
	s_waitcnt vmcnt(0) lgkmcnt(0)
	buffer_invl2
	buffer_wbinvl1_vol
	v_cmp_eq_u32_e32 vcc, 0, v2
	s_and_b64 s[22:23], vcc, exec
	s_or_b64 s[20:21], s[20:21], s[22:23]
.LBB8_1025:                             ;   in Loop: Header=BB8_1023 Depth=1
	s_andn2_b64 s[18:19], s[18:19], exec
	s_and_b64 s[24:25], s[24:25], exec
	s_mov_b64 s[22:23], -1
	s_or_b64 s[18:19], s[18:19], s[24:25]
	s_and_saveexec_b64 s[24:25], s[20:21]
	s_cbranch_execz .LBB8_1022
; %bb.1026:                             ;   in Loop: Header=BB8_1023 Depth=1
	s_sleep 1
	s_trap 2
	ds_read_b64 v[2:3], v0
	s_andn2_b64 s[18:19], s[18:19], exec
	s_waitcnt lgkmcnt(0)
	v_cmp_ge_u64_e32 vcc, v[2:3], v[0:1]
	s_orn2_b64 s[22:23], vcc, exec
	s_branch .LBB8_1022
.LBB8_1027:
	s_or_b64 exec, exec, s[14:15]
	s_and_saveexec_b64 s[14:15], s[16:17]
	s_xor_b64 s[14:15], exec, s[14:15]
	s_cbranch_execz .LBB8_1029
; %bb.1028:
	v_mov_b32_e32 v0, 1
	ds_write_b32 v0, v0
	s_trap 2
.LBB8_1029:
	s_or_b64 exec, exec, s[12:13]
	;;#ASMSTART
	s_wakeup
	;;#ASMEND
.LBB8_1030:
	s_or_b64 exec, exec, s[10:11]
.LBB8_1031:
	s_andn2_saveexec_b64 s[6:7], s[6:7]
	s_cbranch_execz .LBB8_1033
; %bb.1032:
	s_waitcnt vmcnt(0) lgkmcnt(0)
	buffer_wbinvl1_vol
	s_barrier
.LBB8_1033:
	s_or_b64 exec, exec, s[4:5]
.LBB8_1034:
	s_andn2_saveexec_b64 s[26:27], s[46:47]
	s_cbranch_execz .LBB8_1036
; %bb.1035:
	s_getpc_b64 s[4:5]
	s_add_u32 s4, s4, __PRETTY_FUNCTION__._ZN10PrimitivesIa7FuncSumIaE12FanSymmetricILi1EELi0E11ProtoSimpleILi1ELi1ELi0ELi2ELi0ELi0EELi0ELb0ELi0ELi0ELi0EEC2EiiPKiS8_PKvPvmhhhP15ncclDevWorkCollP14ncclDevWorkP2pii@rel32@lo+4
	s_addc_u32 s5, s5, __PRETTY_FUNCTION__._ZN10PrimitivesIa7FuncSumIaE12FanSymmetricILi1EELi0E11ProtoSimpleILi1ELi1ELi0ELi2ELi0ELi0EELi0ELb0ELi0ELi0ELi0EEC2EiiPKiS8_PKvPvmhhhP15ncclDevWorkCollP14ncclDevWorkP2pii@rel32@hi+12
	v_mov_b32_e32 v0, s4
	v_mov_b32_e32 v1, s5
	s_getpc_b64 s[6:7]
	s_add_u32 s6, s6, __assert_fail@rel32@lo+4
	s_addc_u32 s7, s7, __assert_fail@rel32@hi+12
	s_swappc_b64 s[30:31], s[6:7]
	; divergent unreachable
.LBB8_1036:
	s_or_b64 exec, exec, s[26:27]
.LBB8_1037:
	s_or_b64 exec, exec, s[44:45]
	buffer_load_dword v62, off, s[0:3], s33 ; 4-byte Folded Reload
	buffer_load_dword v61, off, s[0:3], s33 offset:4 ; 4-byte Folded Reload
	buffer_load_dword v60, off, s[0:3], s33 offset:8 ; 4-byte Folded Reload
	;; [unrolled: 1-line block ×4, first 2 shown]
	v_readlane_b32 s30, v63, 51
	v_readlane_b32 s31, v63, 52
	;; [unrolled: 1-line block ×53, first 2 shown]
	v_accvgpr_read_b32 v57, a31             ;  Reload Reuse
	v_accvgpr_read_b32 v56, a30             ;  Reload Reuse
	;; [unrolled: 1-line block ×4, first 2 shown]
	s_waitcnt lgkmcnt(0)
	v_accvgpr_read_b32 v45, a27             ;  Reload Reuse
	v_accvgpr_read_b32 v44, a26             ;  Reload Reuse
	;; [unrolled: 1-line block ×6, first 2 shown]
	v_readlane_b32 s4, v63, 53
	s_or_saveexec_b64 s[6:7], -1
	buffer_load_dword v63, off, s[0:3], s33 offset:20 ; 4-byte Folded Reload
	s_mov_b64 exec, s[6:7]
	s_addk_i32 s32, 0xf800
	s_mov_b32 s33, s4
	s_waitcnt vmcnt(0)
	s_setpc_b64 s[30:31]
.Lfunc_end8:
	.size	_ZN12_GLOBAL__N_17runRingIa7FuncSumIaE11ProtoSimpleILi1ELi1ELi0ELi2ELi0ELi0EELi0ELi2ELi0EEEviiP15ncclDevWorkColl, .Lfunc_end8-_ZN12_GLOBAL__N_17runRingIa7FuncSumIaE11ProtoSimpleILi1ELi1ELi0ELi2ELi0ELi0EELi0ELi2ELi0EEEviiP15ncclDevWorkColl
                                        ; -- End function
	.section	.AMDGPU.csdata,"",@progbits
; Function info:
; codeLenInByte = 31960
; NumSgprs: 89
; NumVgprs: 64
; NumAgprs: 32
; TotalNumVgprs: 96
; ScratchSize: 96
; MemoryBound: 1
	.text
	.p2align	2                               ; -- Begin function _Z46ncclDevFunc_Broadcast_RING_SIMPLE_Sum_i8_0_0_2v
	.type	_Z46ncclDevFunc_Broadcast_RING_SIMPLE_Sum_i8_0_0_2v,@function
_Z46ncclDevFunc_Broadcast_RING_SIMPLE_Sum_i8_0_0_2v: ; @_Z46ncclDevFunc_Broadcast_RING_SIMPLE_Sum_i8_0_0_2v
; %bb.0:
	s_waitcnt vmcnt(0) expcnt(0) lgkmcnt(0)
	s_mov_b32 s4, s33
	s_mov_b32 s33, s32
	s_or_saveexec_b64 s[6:7], -1
	buffer_store_dword v43, off, s[0:3], s33 offset:16 ; 4-byte Folded Spill
	s_mov_b64 exec, s[6:7]
	v_writelane_b32 v43, s4, 61
	s_addk_i32 s32, 0x800
	buffer_store_dword v40, off, s[0:3], s33 offset:12 ; 4-byte Folded Spill
	buffer_store_dword v41, off, s[0:3], s33 offset:8 ; 4-byte Folded Spill
	;; [unrolled: 1-line block ×3, first 2 shown]
	buffer_store_dword v63, off, s[0:3], s33 ; 4-byte Folded Spill
	v_writelane_b32 v43, s34, 0
	v_writelane_b32 v43, s35, 1
	;; [unrolled: 1-line block ×61, first 2 shown]
	s_trap 2
	ds_read_b32 v0, v0
	v_mov_b32_e32 v40, v31
	s_mov_b32 s85, s12
	s_mov_b64 s[86:87], s[8:9]
	s_waitcnt lgkmcnt(0)
	v_cmp_gt_i32_e32 vcc, 1, v0
	s_cbranch_vccnz .LBB9_8
; %bb.1:
	s_mov_b32 s92, 0
	v_and_b32_e32 v41, 0x3ff, v40
	s_mov_b64 s[88:89], src_shared_base
	v_mov_b32_e32 v42, 6
	s_branch .LBB9_3
.LBB9_2:                                ;   in Loop: Header=BB9_3 Depth=1
	s_or_b64 exec, exec, s[90:91]
	s_trap 2
	ds_read_b32 v0, v0
	s_add_i32 s92, s92, 1
	s_waitcnt lgkmcnt(0)
	v_cmp_lt_i32_e32 vcc, s92, v0
	s_cbranch_vccz .LBB9_8
.LBB9_3:                                ; =>This Inner Loop Header: Depth=1
	s_trap 2
	ds_read_b32 v0, v0
	s_cmp_eq_u32 s92, 0
	s_cbranch_scc1 .LBB9_6
; %bb.4:                                ;   in Loop: Header=BB9_3 Depth=1
	s_trap 2
	s_waitcnt lgkmcnt(0)
	ds_read_b32 v1, v0
	s_waitcnt lgkmcnt(0)
	v_xor_b32_e32 v1, v1, v0
	v_and_b32_e32 v1, 0xff0000, v1
	v_cmp_eq_u32_e32 vcc, 0, v1
	s_cbranch_vccnz .LBB9_6
; %bb.5:                                ;   in Loop: Header=BB9_3 Depth=1
	s_barrier
	ds_read_b32 v0, v0
.LBB9_6:                                ;   in Loop: Header=BB9_3 Depth=1
	s_waitcnt lgkmcnt(0)
	v_lshlrev_b32_sdwa v1, v42, v0 dst_sel:DWORD dst_unused:UNUSED_PAD src0_sel:DWORD src1_sel:BYTE_2
	v_cmp_lt_u32_e32 vcc, v41, v1
	s_and_saveexec_b64 s[90:91], vcc
	s_cbranch_execz .LBB9_2
; %bb.7:                                ;   in Loop: Header=BB9_3 Depth=1
	s_mov_b64 s[8:9], s[86:87]
	s_mov_b32 s12, s85
	v_mov_b32_e32 v31, v40
	v_mov_b32_e32 v0, v41
	v_mov_b32_e32 v3, s89
	s_getpc_b64 s[4:5]
	s_add_u32 s4, s4, _ZN12_GLOBAL__N_17runRingIa7FuncSumIaE11ProtoSimpleILi1ELi1ELi0ELi2ELi0ELi0EELi0ELi2ELi0EEEviiP15ncclDevWorkColl@rel32@lo+4
	s_addc_u32 s5, s5, _ZN12_GLOBAL__N_17runRingIa7FuncSumIaE11ProtoSimpleILi1ELi1ELi0ELi2ELi0ELi0EELi0ELi2ELi0EEEviiP15ncclDevWorkColl@rel32@hi+12
	s_swappc_b64 s[30:31], s[4:5]
	s_branch .LBB9_2
.LBB9_8:
	buffer_load_dword v63, off, s[0:3], s33 ; 4-byte Folded Reload
	buffer_load_dword v42, off, s[0:3], s33 offset:4 ; 4-byte Folded Reload
	buffer_load_dword v41, off, s[0:3], s33 offset:8 ; 4-byte Folded Reload
	;; [unrolled: 1-line block ×3, first 2 shown]
	v_readlane_b32 s30, v43, 59
	v_readlane_b32 s31, v43, 60
	;; [unrolled: 1-line block ×62, first 2 shown]
	s_or_saveexec_b64 s[6:7], -1
	buffer_load_dword v43, off, s[0:3], s33 offset:16 ; 4-byte Folded Reload
	s_mov_b64 exec, s[6:7]
	s_addk_i32 s32, 0xf800
	s_mov_b32 s33, s4
	s_waitcnt vmcnt(0)
	s_setpc_b64 s[30:31]
.Lfunc_end9:
	.size	_Z46ncclDevFunc_Broadcast_RING_SIMPLE_Sum_i8_0_0_2v, .Lfunc_end9-_Z46ncclDevFunc_Broadcast_RING_SIMPLE_Sum_i8_0_0_2v
                                        ; -- End function
	.section	.AMDGPU.csdata,"",@progbits
; Function info:
; codeLenInByte = 1356
; NumSgprs: 97
; NumVgprs: 64
; NumAgprs: 32
; TotalNumVgprs: 96
; ScratchSize: 128
; MemoryBound: 0
	.text
	.p2align	2                               ; -- Begin function _ZN12_GLOBAL__N_17runRingIa7FuncSumIaE7ProtoLLLi0ELi4ELi0EEEviiP15ncclDevWorkColl
	.type	_ZN12_GLOBAL__N_17runRingIa7FuncSumIaE7ProtoLLLi0ELi4ELi0EEEviiP15ncclDevWorkColl,@function
_ZN12_GLOBAL__N_17runRingIa7FuncSumIaE7ProtoLLLi0ELi4ELi0EEEviiP15ncclDevWorkColl: ; @_ZN12_GLOBAL__N_17runRingIa7FuncSumIaE7ProtoLLLi0ELi4ELi0EEEviiP15ncclDevWorkColl
; %bb.0:
	s_waitcnt vmcnt(0) expcnt(0) lgkmcnt(0)
	s_or_saveexec_b64 s[4:5], -1
	buffer_store_dword v63, off, s[0:3], s32 offset:24 ; 4-byte Folded Spill
	s_mov_b64 exec, s[4:5]
	v_accvgpr_write_b32 a23, v40            ;  Reload Reuse
	v_accvgpr_write_b32 a24, v41            ;  Reload Reuse
	;; [unrolled: 1-line block ×9, first 2 shown]
	buffer_store_dword v57, off, s[0:3], s32 offset:20 ; 4-byte Folded Spill
	buffer_store_dword v58, off, s[0:3], s32 offset:16 ; 4-byte Folded Spill
	;; [unrolled: 1-line block ×5, first 2 shown]
	buffer_store_dword v62, off, s[0:3], s32 ; 4-byte Folded Spill
	v_writelane_b32 v63, s34, 0
	v_writelane_b32 v63, s35, 1
	;; [unrolled: 1-line block ×28, first 2 shown]
	s_trap 2
	ds_read_b64 v[4:5], v0
	flat_load_ushort v9, v[2:3] offset:8
	flat_load_dwordx2 v[20:21], v[2:3]
	ds_read_b32 v6, v0
	v_mov_b32_e32 v22, v0
                                        ; implicit-def: $vgpr16_vgpr17
                                        ; implicit-def: $agpr0_agpr1
	s_waitcnt lgkmcnt(0)
	flat_load_dwordx2 v[14:15], v[4:5]
                                        ; implicit-def: $vgpr4_vgpr5
	s_waitcnt vmcnt(0)
	v_mov_b32_e32 v8, v21
	v_cmp_ne_u32_sdwa s[4:5], v20, v6 src0_sel:BYTE_0 src1_sel:DWORD
	s_and_saveexec_b64 s[6:7], s[4:5]
	s_xor_b64 s[4:5], exec, s[6:7]
	s_cbranch_execz .LBB10_6
; %bb.1:
	v_not_b32_sdwa v0, v20 dst_sel:DWORD dst_unused:UNUSED_PAD src0_sel:BYTE_0
	v_cmp_ne_u32_sdwa s[6:7], v20, v6 src0_sel:BYTE_1 src1_sel:DWORD
                                        ; implicit-def: $vgpr16_vgpr17
                                        ; implicit-def: $vgpr4_vgpr5
                                        ; implicit-def: $agpr0_agpr1
	s_and_saveexec_b64 s[10:11], s[6:7]
	s_xor_b64 s[6:7], exec, s[10:11]
	s_cbranch_execz .LBB10_3
; %bb.2:
	flat_load_dwordx4 v[10:13], v[2:3] offset:72
	flat_load_dwordx2 v[4:5], v[2:3] offset:96
	v_add_u32_e32 v0, v6, v0
	v_ashrrev_i32_e32 v6, 31, v0
	s_waitcnt vmcnt(0) lgkmcnt(0)
	v_mul_lo_u32 v6, v12, v6
	v_mad_u64_u32 v[10:11], s[10:11], v12, v0, v[10:11]
	v_mul_lo_u32 v0, v13, v0
	v_add3_u32 v11, v0, v11, v6
	v_accvgpr_write_b32 a0, v10
	v_lshrrev_b64 v[16:17], 21, v[4:5]
	v_accvgpr_write_b32 a1, v11
	v_pk_mov_b32 v[4:5], v[12:13], v[12:13] op_sel:[0,1]
                                        ; implicit-def: $vgpr0
.LBB10_3:
	s_andn2_saveexec_b64 s[6:7], s[6:7]
	s_cbranch_execz .LBB10_5
; %bb.4:
	flat_load_dwordx4 v[10:13], v[2:3] offset:72
	flat_load_dwordx4 v[4:7], v[2:3] offset:88
	v_add_u32_sdwa v0, v20, v0 dst_sel:DWORD dst_unused:UNUSED_PAD src0_sel:BYTE_1 src1_sel:DWORD
	s_waitcnt vmcnt(0) lgkmcnt(0)
	v_ashrrev_i32_e32 v6, 31, v0
	v_mul_lo_u32 v6, v12, v6
	v_mad_u64_u32 v[10:11], s[10:11], v12, v0, v[10:11]
	v_mul_lo_u32 v0, v13, v0
	v_add3_u32 v11, v0, v11, v6
	v_accvgpr_write_b32 a0, v10
	v_accvgpr_write_b32 a1, v11
	v_lshrrev_b32_e32 v16, 10, v7
.LBB10_5:
	s_or_b64 exec, exec, s[6:7]
.LBB10_6:
	s_andn2_saveexec_b64 s[4:5], s[4:5]
	s_cbranch_execz .LBB10_8
; %bb.7:
	flat_load_dwordx2 v[4:5], v[2:3] offset:72
	flat_load_dwordx2 v[16:17], v[2:3] offset:96
	v_pk_mov_b32 v[6:7], 0, 0
	v_accvgpr_write_b32 a0, v6
	v_accvgpr_write_b32 a1, v7
.LBB10_8:
	s_or_b64 exec, exec, s[4:5]
	flat_load_dwordx4 v[10:13], v[2:3] offset:16
	s_brev_b32 s4, 34
	v_and_b32_e32 v0, 0x44000000, v20
	v_cmp_eq_u32_e64 s[20:21], s4, v0
	v_cndmask_b32_e64 v2, v1, 64, s[20:21]
	v_bfe_u32 v3, v8, 1, 30
	v_cmp_ge_i32_e32 vcc, v22, v2
	s_and_saveexec_b64 s[4:5], vcc
	s_xor_b64 s[6:7], exec, s[4:5]
	s_cbranch_execz .LBB10_40
; %bb.9:
	s_waitcnt vmcnt(0) lgkmcnt(0)
	v_cmp_ne_u64_e32 vcc, v[12:13], v[10:11]
	v_cmp_eq_u32_e64 s[4:5], v14, v3
	s_and_b64 s[10:11], vcc, s[4:5]
	s_and_saveexec_b64 s[4:5], s[10:11]
	s_cbranch_execz .LBB10_39
; %bb.10:
	v_accvgpr_read_b32 v7, a1
	v_sub_u32_e32 v25, v22, v2
	v_accvgpr_read_b32 v6, a0
	v_ashrrev_i32_e32 v8, 31, v25
	v_add_co_u32_e32 v0, vcc, v12, v6
	v_lshrrev_b32_e32 v8, 26, v8
	v_addc_co_u32_e32 v3, vcc, v13, v7, vcc
	v_add_u32_e32 v8, v25, v8
	v_add_co_u32_e32 v6, vcc, v10, v6
	v_and_b32_e32 v9, 0xffffffc0, v8
	v_addc_co_u32_e32 v7, vcc, v11, v7, vcc
	v_sub_u32_e32 v20, v25, v9
	v_cmp_gt_i32_e32 vcc, 1, v20
	v_mov_b32_e32 v9, 0
	s_and_saveexec_b64 s[10:11], vcc
; %bb.11:
	v_or_b32_e32 v9, v0, v6
	v_and_b32_e32 v9, 15, v9
	v_cmp_ne_u32_e32 vcc, 0, v9
	v_cndmask_b32_e64 v9, 0, 1, vcc
; %bb.12:
	s_or_b64 exec, exec, s[10:11]
	v_ashrrev_i32_e32 v26, 6, v8
	v_sub_u32_e32 v24, v1, v2
	;;#ASMSTART
	;;#ASMEND
	v_cmp_ne_u32_e32 vcc, 0, v9
	s_cbranch_vccz .LBB10_14
; %bb.13:
	s_mov_b64 s[14:15], -1
	v_pk_mov_b32 v[0:1], 0, 0
	s_and_b64 exec, exec, s[14:15]
	s_cbranch_execnz .LBB10_31
	s_branch .LBB10_39
.LBB10_14:
	v_ashrrev_i32_e32 v1, 31, v5
	v_lshrrev_b32_e32 v1, 20, v1
	v_add_co_u32_e32 v8, vcc, v4, v1
	v_addc_co_u32_e32 v9, vcc, 0, v5, vcc
	v_ashrrev_i64 v[14:15], 12, v[8:9]
	v_ashrrev_i32_e32 v1, 31, v26
	v_sub_co_u32_e32 v8, vcc, v14, v26
	v_subb_co_u32_e32 v9, vcc, v15, v1, vcc
	s_mov_b64 s[14:15], 0
	v_cmp_lt_i64_e32 vcc, 0, v[8:9]
	s_and_saveexec_b64 s[10:11], vcc
	s_cbranch_execz .LBB10_18
; %bb.15:
	v_ashrrev_i32_e32 v16, 31, v24
	v_lshrrev_b32_e32 v16, 26, v16
	v_add_u32_e32 v16, v24, v16
	v_ashrrev_i32_e32 v16, 6, v16
	v_mov_b32_e32 v17, 0xfffff000
	v_lshlrev_b32_e32 v1, 4, v20
	v_lshl_add_u32 v18, v16, 12, v17
	v_lshl_add_u32 v2, v26, 12, v1
	v_ashrrev_i32_e32 v19, 31, v18
	v_add_co_u32_e32 v21, vcc, 0x1000, v18
	v_ashrrev_i32_e32 v1, 31, v2
	v_ashrrev_i32_e32 v17, 31, v16
	v_addc_co_u32_e32 v22, vcc, 0, v19, vcc
.LBB10_16:                              ; =>This Inner Loop Header: Depth=1
	v_add_co_u32_e32 v18, vcc, v2, v0
	v_addc_co_u32_e32 v19, vcc, v1, v3, vcc
	global_load_dwordx4 v[26:29], v[18:19], off glc slc
	global_load_dwordx4 v[30:33], v[18:19], off offset:1024 glc slc
	global_load_dwordx4 v[34:37], v[18:19], off offset:2048 glc slc
	;; [unrolled: 1-line block ×3, first 2 shown]
	v_add_co_u32_e32 v18, vcc, v2, v6
	v_addc_co_u32_e32 v19, vcc, v1, v7, vcc
	v_sub_co_u32_e32 v8, vcc, v8, v16
	v_subb_co_u32_e32 v9, vcc, v9, v17, vcc
	v_add_co_u32_e32 v0, vcc, v0, v21
	v_addc_co_u32_e32 v3, vcc, v3, v22, vcc
	v_add_co_u32_e32 v6, vcc, v6, v21
	v_addc_co_u32_e32 v7, vcc, v7, v22, vcc
	v_cmp_gt_i64_e32 vcc, 1, v[8:9]
	s_or_b64 s[14:15], vcc, s[14:15]
	s_waitcnt vmcnt(3)
	global_store_dwordx4 v[18:19], v[26:29], off glc slc
	s_waitcnt vmcnt(3)
	global_store_dwordx4 v[18:19], v[30:33], off offset:1024 glc slc
	s_waitcnt vmcnt(3)
	global_store_dwordx4 v[18:19], v[34:37], off offset:2048 glc slc
	;; [unrolled: 2-line block ×3, first 2 shown]
	s_andn2_b64 exec, exec, s[14:15]
	s_cbranch_execnz .LBB10_16
; %bb.17:
	s_or_b64 exec, exec, s[14:15]
.LBB10_18:
	s_or_b64 exec, exec, s[10:11]
	v_lshlrev_b64 v[14:15], 12, v[14:15]
	v_cmp_ne_u64_e32 vcc, v[4:5], v[14:15]
	s_mov_b64 s[14:15], 0
	v_pk_mov_b32 v[0:1], 0, 0
                                        ; implicit-def: $vgpr25
                                        ; implicit-def: $vgpr26
	s_and_saveexec_b64 s[10:11], vcc
	s_cbranch_execz .LBB10_30
; %bb.19:
	v_sub_co_u32_e32 v9, vcc, v4, v14
	v_subb_co_u32_e32 v5, vcc, v5, v15, vcc
	v_ashrrev_i32_e32 v0, 31, v5
	v_lshrrev_b32_e32 v0, 22, v0
	v_add_co_u32_e32 v2, vcc, v9, v0
	v_addc_co_u32_e32 v3, vcc, 0, v5, vcc
	v_and_b32_e32 v0, 0xfffffc00, v2
	v_add_co_u32_e32 v6, vcc, v0, v14
	v_addc_co_u32_e32 v7, vcc, v3, v15, vcc
	v_ashrrev_i64 v[16:17], 10, v[2:3]
	v_sub_co_u32_e32 v2, vcc, v9, v0
	v_subb_co_u32_e32 v3, vcc, v5, v3, vcc
	v_mov_b32_e32 v1, 0
	v_cmp_lt_i64_e32 vcc, 15, v[2:3]
	s_and_saveexec_b64 s[14:15], vcc
; %bb.20:
	v_add_co_u32_e32 v16, vcc, 1, v16
	v_addc_co_u32_e32 v17, vcc, 0, v17, vcc
	v_and_b32_e32 v0, 15, v4
	v_sub_co_u32_e32 v2, vcc, v2, v0
	v_subbrev_co_u32_e32 v3, vcc, 0, v3, vcc
	v_add_co_u32_e32 v6, vcc, v2, v6
	v_addc_co_u32_e32 v7, vcc, v3, v7, vcc
	v_pk_mov_b32 v[2:3], v[0:1], v[0:1] op_sel:[0,1]
; %bb.21:
	s_or_b64 exec, exec, s[14:15]
	v_lshlrev_b32_e32 v0, 6, v8
	v_sub_u32_e32 v0, v20, v0
	v_ashrrev_i32_e32 v1, 31, v0
	v_lshrrev_b32_e32 v1, 26, v1
	v_add_u32_e32 v1, v0, v1
	v_ashrrev_i32_e32 v4, 6, v1
	v_and_b32_e32 v1, 0xffffffc0, v1
	v_sub_u32_e32 v22, v0, v1
	v_lshlrev_b32_e32 v0, 4, v22
	v_lshl_add_u32 v20, v4, 10, v0
	v_ashrrev_i32_e32 v21, 31, v20
	v_sub_co_u32_e32 v0, vcc, v9, v20
	v_subb_co_u32_e32 v1, vcc, v5, v21, vcc
	v_ashrrev_i32_e32 v5, 31, v4
	v_sub_co_u32_e32 v4, vcc, v16, v4
	v_subb_co_u32_e32 v5, vcc, v17, v5, vcc
	v_cmp_lt_i64_e32 vcc, 15, v[0:1]
	s_and_saveexec_b64 s[14:15], vcc
	s_cbranch_execz .LBB10_25
; %bb.22:
	v_ashrrev_i32_e32 v8, 31, v24
	v_lshrrev_b32_e32 v8, 26, v8
	v_add_u32_e32 v8, v24, v8
	v_ashrrev_i32_e32 v8, 6, v8
	v_lshlrev_b32_e32 v16, 10, v8
	v_add_u32_e32 v9, 0xfffffc00, v16
	v_ashrrev_i32_e32 v17, 31, v9
	v_add_co_u32_e32 v23, vcc, 0x400, v9
	v_accvgpr_read_b32 v19, a1
	v_addc_co_u32_e32 v25, vcc, 0, v17, vcc
	v_accvgpr_read_b32 v18, a0
	v_add_co_u32_e32 v14, vcc, v18, v14
	v_addc_co_u32_e32 v15, vcc, v19, v15, vcc
	v_add_co_u32_e32 v14, vcc, v14, v20
	v_ashrrev_i32_e32 v9, 31, v16
	v_ashrrev_i32_e32 v17, 31, v8
	v_addc_co_u32_e32 v15, vcc, v15, v21, vcc
	s_mov_b64 s[16:17], 0
.LBB10_23:                              ; =>This Inner Loop Header: Depth=1
	v_add_co_u32_e32 v18, vcc, v12, v14
	v_addc_co_u32_e32 v19, vcc, v13, v15, vcc
	global_load_dwordx4 v[26:29], v[18:19], off glc slc
	v_add_co_u32_e32 v18, vcc, v10, v14
	v_addc_co_u32_e32 v19, vcc, v11, v15, vcc
	v_sub_co_u32_e32 v0, vcc, v0, v16
	v_subb_co_u32_e32 v1, vcc, v1, v9, vcc
	v_sub_co_u32_e32 v4, vcc, v4, v8
	v_subb_co_u32_e32 v5, vcc, v5, v17, vcc
	v_add_co_u32_e32 v14, vcc, v14, v23
	v_addc_co_u32_e32 v15, vcc, v15, v25, vcc
	v_cmp_gt_i64_e32 vcc, 16, v[0:1]
	s_or_b64 s[16:17], vcc, s[16:17]
	s_waitcnt vmcnt(0)
	global_store_dwordx4 v[18:19], v[26:29], off glc slc
	s_andn2_b64 exec, exec, s[16:17]
	s_cbranch_execnz .LBB10_23
; %bb.24:
	s_or_b64 exec, exec, s[16:17]
.LBB10_25:
	s_or_b64 exec, exec, s[14:15]
	s_mov_b64 s[14:15], 0
	v_cmp_lt_i64_e32 vcc, 0, v[4:5]
	s_and_saveexec_b64 s[16:17], vcc
; %bb.26:
	v_ashrrev_i32_e32 v0, 31, v24
	v_lshrrev_b32_e32 v0, 26, v0
	v_add_u32_e32 v0, v24, v0
	v_ashrrev_i32_e32 v0, 6, v0
	v_sub_co_u32_e32 v4, vcc, v4, v0
; %bb.27:
	s_or_b64 exec, exec, s[16:17]
	v_cmp_ne_u64_e32 vcc, 0, v[2:3]
	v_pk_mov_b32 v[0:1], 0, 0
                                        ; implicit-def: $vgpr25
                                        ; implicit-def: $vgpr26
	s_and_saveexec_b64 s[16:17], vcc
; %bb.28:
	v_lshlrev_b32_e32 v0, 6, v4
	v_sub_u32_e32 v25, v22, v0
	v_ashrrev_i32_e32 v0, 31, v25
	v_lshrrev_b32_e32 v0, 26, v0
	v_add_u32_e32 v0, v25, v0
	s_mov_b64 s[14:15], exec
	v_ashrrev_i32_e32 v26, 6, v0
	v_pk_mov_b32 v[0:1], v[6:7], v[6:7] op_sel:[0,1]
; %bb.29:
	s_or_b64 exec, exec, s[16:17]
	s_and_b64 s[14:15], s[14:15], exec
	v_pk_mov_b32 v[4:5], v[2:3], v[2:3] op_sel:[0,1]
.LBB10_30:
	s_or_b64 exec, exec, s[10:11]
	s_and_b64 exec, exec, s[14:15]
	s_cbranch_execz .LBB10_39
.LBB10_31:
	v_ashrrev_i32_e32 v2, 31, v5
	v_lshrrev_b32_e32 v2, 21, v2
	v_add_co_u32_e32 v2, vcc, v4, v2
	v_addc_co_u32_e32 v3, vcc, 0, v5, vcc
	v_ashrrev_i64 v[6:7], 11, v[2:3]
	v_ashrrev_i32_e32 v3, 31, v26
	v_sub_co_u32_e32 v2, vcc, v6, v26
	v_subb_co_u32_e32 v3, vcc, v7, v3, vcc
	s_mov_b64 s[14:15], 0
	v_cmp_lt_i64_e32 vcc, 0, v[2:3]
	s_and_saveexec_b64 s[10:11], vcc
	s_cbranch_execz .LBB10_35
; %bb.32:
	v_ashrrev_i32_e32 v14, 31, v24
	v_lshrrev_b32_e32 v14, 26, v14
	v_add_u32_e32 v14, v24, v14
	v_ashrrev_i32_e32 v14, 6, v14
	v_mov_b32_e32 v15, 0xfffff800
	v_lshl_add_u32 v16, v14, 11, v15
	s_movk_i32 s13, 0x800
	v_ashrrev_i32_e32 v17, 31, v16
	v_add_co_u32_e32 v27, vcc, s13, v16
	v_addc_co_u32_e32 v28, vcc, 0, v17, vcc
	v_accvgpr_read_b32 v17, a1
	v_ashrrev_i32_e32 v8, 31, v25
	v_accvgpr_read_b32 v16, a0
	v_lshrrev_b32_e32 v8, 26, v8
	v_add_co_u32_e32 v18, vcc, v16, v0
	v_add_u32_e32 v8, v25, v8
	v_addc_co_u32_e32 v19, vcc, v17, v1, vcc
	v_and_b32_e32 v8, 0xffffffc0, v8
	v_add_co_u32_e32 v16, vcc, v18, v12
	v_sub_u32_e32 v8, v25, v8
	v_addc_co_u32_e32 v17, vcc, v19, v13, vcc
	v_lshl_add_u32 v8, v26, 11, v8
	v_add_co_u32_e32 v20, vcc, v18, v10
	v_ashrrev_i32_e32 v9, 31, v8
	v_ashrrev_i32_e32 v15, 31, v14
	v_addc_co_u32_e32 v21, vcc, v19, v11, vcc
.LBB10_33:                              ; =>This Inner Loop Header: Depth=1
	v_add_co_u32_e32 v18, vcc, v8, v16
	v_addc_co_u32_e32 v19, vcc, v9, v17, vcc
	flat_load_ubyte v29, v[18:19] glc slc
	flat_load_ubyte v30, v[18:19] offset:64 glc slc
	flat_load_ubyte v31, v[18:19] offset:128 glc slc
	;; [unrolled: 1-line block ×30, first 2 shown]
	s_nop 0
	flat_load_ubyte v18, v[18:19] offset:1984 glc slc
	v_add_co_u32_e32 v22, vcc, v8, v20
	v_addc_co_u32_e32 v23, vcc, v9, v21, vcc
	v_sub_co_u32_e32 v2, vcc, v2, v14
	v_subb_co_u32_e32 v3, vcc, v3, v15, vcc
	v_add_co_u32_e32 v16, vcc, v16, v27
	v_addc_co_u32_e32 v17, vcc, v17, v28, vcc
	v_add_co_u32_e32 v20, vcc, v20, v27
	v_addc_co_u32_e32 v21, vcc, v21, v28, vcc
	v_cmp_gt_i64_e32 vcc, 1, v[2:3]
	s_or_b64 s[14:15], vcc, s[14:15]
	s_waitcnt vmcnt(0) lgkmcnt(0)
	flat_store_byte v[22:23], v29 glc slc
	flat_store_byte v[22:23], v30 offset:64 glc slc
	flat_store_byte v[22:23], v31 offset:128 glc slc
	;; [unrolled: 1-line block ×31, first 2 shown]
	s_andn2_b64 exec, exec, s[14:15]
	s_cbranch_execnz .LBB10_33
; %bb.34:
	s_or_b64 exec, exec, s[14:15]
.LBB10_35:
	s_or_b64 exec, exec, s[10:11]
	v_lshlrev_b64 v[6:7], 11, v[6:7]
	v_cmp_ne_u64_e32 vcc, v[4:5], v[6:7]
	s_and_b64 exec, exec, vcc
	s_cbranch_execz .LBB10_39
; %bb.36:
	v_lshlrev_b32_e32 v3, 6, v26
	v_sub_u32_e32 v3, v25, v3
	v_lshlrev_b32_e32 v2, 6, v2
	v_sub_u32_e32 v8, v3, v2
	v_ashrrev_i32_e32 v9, 31, v8
	v_add_co_u32_e32 v2, vcc, v6, v8
	v_addc_co_u32_e32 v3, vcc, v7, v9, vcc
	v_sub_co_u32_e32 v2, vcc, v4, v2
	v_subb_co_u32_e32 v3, vcc, v5, v3, vcc
	s_mov_b64 s[10:11], 0
	v_cmp_lt_i64_e32 vcc, 0, v[2:3]
	s_and_b64 exec, exec, vcc
	s_cbranch_execz .LBB10_39
; %bb.37:
	v_ashrrev_i32_e32 v4, 31, v24
	v_lshrrev_b32_e32 v4, 26, v4
	v_add_u32_e32 v4, v24, v4
	v_and_b32_e32 v4, 0xffffffc0, v4
	v_subrev_u32_e32 v5, 64, v4
	v_ashrrev_i32_e32 v15, 31, v5
	v_add_co_u32_e32 v14, vcc, 64, v5
	v_accvgpr_read_b32 v17, a1
	v_addc_co_u32_e32 v15, vcc, 0, v15, vcc
	v_accvgpr_read_b32 v16, a0
	v_add_co_u32_e32 v0, vcc, v16, v0
	v_addc_co_u32_e32 v1, vcc, v17, v1, vcc
	v_add_co_u32_e32 v0, vcc, v0, v6
	v_addc_co_u32_e32 v1, vcc, v1, v7, vcc
	v_add_co_u32_e32 v0, vcc, v0, v8
	v_ashrrev_i32_e32 v5, 31, v4
	v_addc_co_u32_e32 v1, vcc, v1, v9, vcc
.LBB10_38:                              ; =>This Inner Loop Header: Depth=1
	v_add_co_u32_e32 v6, vcc, v12, v0
	v_addc_co_u32_e32 v7, vcc, v13, v1, vcc
	flat_load_ubyte v8, v[6:7] glc slc
	v_add_co_u32_e32 v6, vcc, v10, v0
	v_addc_co_u32_e32 v7, vcc, v11, v1, vcc
	v_sub_co_u32_e32 v2, vcc, v2, v4
	v_subb_co_u32_e32 v3, vcc, v3, v5, vcc
	v_add_co_u32_e32 v0, vcc, v0, v14
	v_addc_co_u32_e32 v1, vcc, v1, v15, vcc
	v_cmp_gt_i64_e32 vcc, 1, v[2:3]
	s_or_b64 s[10:11], vcc, s[10:11]
	s_waitcnt vmcnt(0) lgkmcnt(0)
	flat_store_byte v[6:7], v8 glc slc
	s_andn2_b64 exec, exec, s[10:11]
	s_cbranch_execnz .LBB10_38
.LBB10_39:
	s_or_b64 exec, exec, s[4:5]
                                        ; implicit-def: $vgpr14_vgpr15
                                        ; implicit-def: $agpr0_agpr1
                                        ; implicit-def: $vgpr4_vgpr5
                                        ; implicit-def: $vgpr16_vgpr17
                                        ; implicit-def: $vgpr3
                                        ; implicit-def: $vgpr2
                                        ; implicit-def: $vgpr22
                                        ; implicit-def: $vgpr31
                                        ; implicit-def: $vgpr12_vgpr13
                                        ; implicit-def: $vgpr8_vgpr9
.LBB10_40:
	s_andn2_saveexec_b64 s[22:23], s[6:7]
	s_cbranch_execz .LBB10_348
; %bb.41:
	s_load_dword s4, s[8:9], 0x0
	v_mov_b32_e32 v1, 0
	v_lshrrev_b64 v[6:7], 31, v[8:9]
	v_ashrrev_i32_e32 v23, 31, v22
	v_and_b32_e32 v9, 3, v6
	s_waitcnt lgkmcnt(0)
	s_cmp_lt_u32 s12, s4
	s_cselect_b32 s4, 12, 18
	s_add_u32 s4, s8, s4
	s_addc_u32 s5, s9, 0
	global_load_ushort v17, v1, s[4:5]
	s_trap 2
	ds_read_b32 v0, v0
	v_lshrrev_b32_e32 v6, 26, v23
	v_add_u32_e32 v6, v22, v6
	v_and_b32_e32 v6, 0xffffffc0, v6
	v_sub_u32_e32 v8, v22, v6
	s_waitcnt lgkmcnt(0)
	v_cmp_gt_i32_e32 vcc, 0, v0
	s_mov_b32 s6, 0
	v_pk_mov_b32 v[18:19], 0, 0
	v_cmp_eq_u32_e64 s[4:5], 0, v8
	s_cbranch_vccnz .LBB10_43
; %bb.42:
	s_trap 2
	ds_read_b64 v[6:7], v0
	v_lshlrev_b64 v[20:21], 3, v[0:1]
	v_and_b32_e32 v1, 0xffff, v9
	s_movk_i32 s6, 0xa8
	s_waitcnt lgkmcnt(0)
	v_add_co_u32_e32 v6, vcc, v6, v20
	v_addc_co_u32_e32 v7, vcc, v7, v21, vcc
	flat_load_dwordx2 v[6:7], v[6:7]
	s_waitcnt vmcnt(0) lgkmcnt(0)
	v_mad_u64_u32 v[6:7], s[6:7], v1, s6, v[6:7]
	flat_load_dwordx2 a[8:9], v[6:7] offset:504
	flat_load_dwordx2 v[26:27], v[6:7] offset:608
	v_add_co_u32_e32 v1, vcc, 0x1f8, v6
	v_addc_co_u32_e32 v6, vcc, 0, v7, vcc
	v_cndmask_b32_e64 v25, 0, v6, s[4:5]
	v_cndmask_b32_e64 v24, 0, v1, s[4:5]
	s_mov_b32 s6, 1
	s_branch .LBB10_44
.LBB10_43:
	v_pk_mov_b32 v[24:25], v[18:19], v[18:19] op_sel:[0,1]
                                        ; implicit-def: $vgpr26_vgpr27
                                        ; implicit-def: $agpr8_agpr9
.LBB10_44:
	s_trap 2
	ds_read_b32 v6, v0
	s_waitcnt lgkmcnt(0)
	v_cmp_gt_i32_e32 vcc, 0, v6
	s_cbranch_vccnz .LBB10_46
; %bb.45:
	s_trap 2
	ds_read_b64 v[20:21], v0
	v_mov_b32_e32 v7, 0
	v_lshlrev_b64 v[6:7], 3, v[6:7]
	v_and_b32_e32 v1, 0xffff, v9
	s_movk_i32 s4, 0xa8
	s_waitcnt lgkmcnt(0)
	v_add_co_u32_e32 v6, vcc, v20, v6
	v_addc_co_u32_e32 v7, vcc, v21, v7, vcc
	flat_load_dwordx2 v[6:7], v[6:7]
	v_cmp_eq_u32_e32 vcc, 0, v8
	s_waitcnt vmcnt(0) lgkmcnt(0)
	v_mad_u64_u32 v[6:7], s[4:5], v1, s4, v[6:7]
	flat_load_dwordx2 a[10:11], v[6:7]
	flat_load_dwordx2 v[32:33], v[6:7] offset:104
	v_cndmask_b32_e32 v19, 0, v7, vcc
	v_cndmask_b32_e32 v18, 0, v6, vcc
	s_branch .LBB10_47
.LBB10_46:
                                        ; implicit-def: $vgpr32_vgpr33
                                        ; implicit-def: $agpr10_agpr11
.LBB10_47:
	v_subrev_u32_e32 v1, 64, v2
	v_pk_mov_b32 v[6:7], 0, 0
	v_cmp_le_i32_e32 vcc, v1, v22
	v_cmp_gt_i32_e64 s[4:5], s6, v8
	v_accvgpr_write_b32 a13, v7
	s_and_b64 s[24:25], vcc, s[4:5]
	v_accvgpr_write_b32 a12, v6
                                        ; implicit-def: $vgpr34_vgpr35
	s_and_saveexec_b64 s[4:5], s[24:25]
	s_cbranch_execz .LBB10_49
; %bb.48:
	flat_load_dwordx2 a[12:13], v[24:25] offset:56
	flat_load_dwordx2 v[34:35], v[24:25] offset:104
.LBB10_49:
	s_or_b64 exec, exec, s[4:5]
	v_cmp_gt_i32_e64 s[4:5], s6, v22
	v_pk_mov_b32 v[38:39], v[6:7], v[6:7] op_sel:[0,1]
                                        ; implicit-def: $vgpr48_vgpr49
	s_and_saveexec_b64 s[6:7], s[4:5]
	s_cbranch_execz .LBB10_51
; %bb.50:
	flat_load_dwordx2 v[38:39], v[18:19] offset:56
	s_waitcnt vmcnt(0) lgkmcnt(0)
	flat_load_dwordx2 v[48:49], v[38:39] glc
	s_waitcnt vmcnt(0)
	flat_load_dwordx4 v[6:9], v[18:19] offset:96
.LBB10_51:
	s_or_b64 exec, exec, s[6:7]
	s_waitcnt vmcnt(0)
	v_cmp_ne_u64_e32 vcc, 0, v[4:5]
	v_pk_mov_b32 v[40:41], 0, 0
	s_and_saveexec_b64 s[26:27], vcc
	s_cbranch_execnz .LBB10_55
; %bb.52:
	s_or_b64 exec, exec, s[26:27]
	s_and_saveexec_b64 s[6:7], s[24:25]
	s_cbranch_execnz .LBB10_328
.LBB10_53:
	s_or_b64 exec, exec, s[6:7]
	s_and_saveexec_b64 s[6:7], s[4:5]
	s_cbranch_execnz .LBB10_329
.LBB10_54:
	s_or_b64 exec, exec, s[6:7]
	v_cmp_ne_u32_e32 vcc, 64, v2
	s_and_saveexec_b64 s[4:5], vcc
	s_cbranch_execnz .LBB10_330
	s_branch .LBB10_347
.LBB10_55:
	v_ashrrev_i32_e32 v1, 31, v0
	v_lshrrev_b32_e32 v1, 29, v1
	v_add_u32_e32 v0, v0, v1
	v_ashrrev_i32_e32 v62, 7, v0
	v_lshlrev_b32_e32 v0, 4, v16
	v_and_b32_e32 v30, 0x1fffff0, v0
	v_cvt_f64_u32_e32 v[0:1], 0
	v_accvgpr_write_b32 a4, v18
	v_ldexp_f64 v[0:1], v[0:1], 32
	v_cvt_f64_u32_e32 v[20:21], v30
	v_accvgpr_write_b32 a5, v19
	v_add_f64 v[18:19], v[0:1], v[20:21]
	v_cmp_ne_u32_e64 s[6:7], v14, v3
	v_cmp_ne_u32_e64 s[8:9], v15, v3
	v_and_b32_e32 v0, 63, v31
	v_ashrrev_i32_e32 v3, 31, v2
	v_cmp_eq_u32_e64 s[16:17], 0, v0
	v_lshrrev_b32_e32 v0, 26, v3
	v_add_u32_e32 v0, v2, v0
	v_ashrrev_i32_e32 v0, 6, v0
	v_lshlrev_b32_e32 v42, 3, v22
	v_accvgpr_write_b32 a16, v0
	v_ashrrev_i32_e32 v1, 31, v0
	v_ashrrev_i32_e32 v43, 31, v42
	v_add_co_u32_e32 v0, vcc, v10, v42
	v_accvgpr_write_b32 a18, v0
	v_addc_co_u32_e32 v0, vcc, v11, v43, vcc
	v_accvgpr_read_b32 v15, a1
	v_cmp_ne_u64_e32 vcc, v[12:13], v[10:11]
	s_xor_b64 s[20:21], s[20:21], -1
	v_accvgpr_read_b32 v14, a0
	s_and_b64 s[34:35], s[20:21], vcc
	v_add_co_u32_e32 v56, vcc, v14, v12
	v_addc_co_u32_e32 v57, vcc, v15, v13, vcc
	v_accvgpr_write_b32 a17, v1
	v_accvgpr_write_b32 a19, v0
	s_waitcnt lgkmcnt(0)
	v_accvgpr_read_b32 v0, a12
	v_add_co_u32_e32 v58, vcc, v56, v42
	v_accvgpr_read_b32 v1, a13
	v_addc_co_u32_e32 v59, vcc, v57, v43, vcc
	v_cmp_ne_u64_e64 s[18:19], 0, v[0:1]
	v_and_b32_e32 v0, 0x1fffff, v16
	v_add_co_u32_e32 v60, vcc, v10, v14
	v_lshlrev_b32_e32 v29, 7, v0
	v_addc_co_u32_e32 v61, vcc, v11, v15, vcc
	v_lshlrev_b64 v[0:1], 4, v[22:23]
	v_accvgpr_read_b32 v10, a10
	v_accvgpr_read_b32 v11, a11
	v_add_co_u32_e32 v0, vcc, v10, v0
	v_accvgpr_write_b32 a6, v24
	v_lshlrev_b32_e32 v44, 3, v2
	v_accvgpr_write_b32 a21, v0
	v_addc_co_u32_e32 v0, vcc, v11, v1, vcc
	v_pk_mov_b32 v[50:51], 0, 0
	v_accvgpr_write_b32 a14, v18
	v_accvgpr_write_b32 a7, v25
	v_mov_b32_e32 v53, 0
	s_mov_b64 s[28:29], 0
	v_cmp_ne_u64_e64 s[10:11], 0, v[38:39]
	v_cmp_ne_u64_e64 s[12:13], 0, v[6:7]
	v_cmp_ne_u32_e64 s[14:15], 64, v2
	v_accvgpr_write_b32 a3, v17
	v_cmp_ne_u32_sdwa s[30:31], v2, v17 src0_sel:DWORD src1_sel:WORD_0
	v_accvgpr_write_b32 a2, v31
	v_ashrrev_i32_e32 v45, 31, v44
	v_lshlrev_b64 v[46:47], 4, v[2:3]
	v_lshlrev_b32_e32 v3, 3, v58
	v_lshlrev_b32_e32 v24, 6, v2
	v_accvgpr_write_b32 a22, v0
	s_movk_i32 s58, 0x2710
	s_mov_b64 s[36:37], 0x7ffffff8
	v_mov_b32_e32 v23, 0
	v_pk_mov_b32 v[40:41], v[50:51], v[50:51] op_sel:[0,1]
	v_accvgpr_write_b32 a15, v19
	v_accvgpr_write_b32 a20, v29
	s_branch .LBB10_59
.LBB10_56:                              ;   in Loop: Header=BB10_59 Depth=1
	s_or_b64 exec, exec, s[42:43]
	v_add_co_u32_e32 v32, vcc, 1, v32
	v_addc_co_u32_e32 v33, vcc, 0, v33, vcc
.LBB10_57:                              ;   in Loop: Header=BB10_59 Depth=1
	s_or_b64 exec, exec, s[40:41]
.LBB10_58:                              ;   in Loop: Header=BB10_59 Depth=1
	s_or_b64 exec, exec, s[38:39]
	v_add_co_u32_e32 v50, vcc, v50, v30
	v_addc_co_u32_e32 v51, vcc, 0, v51, vcc
	v_add_co_u32_e32 v56, vcc, v56, v30
	v_addc_co_u32_e32 v57, vcc, 0, v57, vcc
	;; [unrolled: 2-line block ×3, first 2 shown]
	v_cmp_ge_u64_e32 vcc, v[50:51], v[4:5]
	s_or_b64 s[28:29], vcc, s[28:29]
	v_add_co_u32_e32 v58, vcc, v58, v30
	v_add_u32_e32 v3, v3, v29
	v_addc_co_u32_e32 v59, vcc, 0, v59, vcc
	s_andn2_b64 exec, exec, s[28:29]
	s_cbranch_execz .LBB10_327
.LBB10_59:                              ; =>This Loop Header: Depth=1
                                        ;     Child Loop BB10_68 Depth 2
                                        ;     Child Loop BB10_85 Depth 2
	;; [unrolled: 1-line block ×3, first 2 shown]
                                        ;       Child Loop BB10_130 Depth 3
                                        ;     Child Loop BB10_196 Depth 2
                                        ;     Child Loop BB10_102 Depth 2
	;; [unrolled: 1-line block ×3, first 2 shown]
                                        ;       Child Loop BB10_162 Depth 3
                                        ;     Child Loop BB10_208 Depth 2
                                        ;     Child Loop BB10_120 Depth 2
                                        ;     Child Loop BB10_225 Depth 2
                                        ;     Child Loop BB10_253 Depth 2
                                        ;     Child Loop BB10_278 Depth 2
                                        ;     Child Loop BB10_288 Depth 2
                                        ;     Child Loop BB10_305 Depth 2
                                        ;     Child Loop BB10_319 Depth 2
                                        ;     Child Loop BB10_326 Depth 2
	v_sub_co_u32_e32 v10, vcc, v4, v50
	v_subb_co_u32_e32 v0, vcc, v5, v51, vcc
	v_cvt_f64_u32_e32 v[0:1], v0
	v_ldexp_f64 v[0:1], v[0:1], 32
	v_cvt_f64_u32_e32 v[10:11], v10
	v_add_f64 v[0:1], v[0:1], v[10:11]
	v_max_f64 v[10:11], v[18:19], v[18:19]
	v_min_f64 v[0:1], v[10:11], v[0:1]
	v_cvt_i32_f64_e32 v0, v[0:1]
	v_max_i32_e32 v10, 0, v0
	s_and_saveexec_b64 s[20:21], s[6:7]
	s_xor_b64 s[38:39], exec, s[20:21]
	s_cbranch_execz .LBB10_110
; %bb.60:                               ;   in Loop: Header=BB10_59 Depth=1
	v_accvgpr_read_b32 v0, a0
	v_accvgpr_read_b32 v1, a1
	v_add_co_u32_e32 v11, vcc, v50, v0
	v_addc_co_u32_e32 v12, vcc, v51, v1, vcc
	s_and_saveexec_b64 s[20:21], s[8:9]
	s_xor_b64 s[40:41], exec, s[20:21]
	s_cbranch_execz .LBB10_104
; %bb.61:                               ;   in Loop: Header=BB10_59 Depth=1
	s_and_saveexec_b64 s[20:21], s[10:11]
	s_cbranch_execz .LBB10_77
; %bb.62:                               ;   in Loop: Header=BB10_59 Depth=1
	v_add_co_u32_e32 v0, vcc, 1, v8
	v_addc_co_u32_e32 v1, vcc, 0, v9, vcc
	s_waitcnt vmcnt(0) lgkmcnt(0)
	v_add_co_u32_e32 v14, vcc, 8, v48
	v_addc_co_u32_e32 v15, vcc, 0, v49, vcc
	v_cmp_lt_u64_e32 vcc, v[14:15], v[0:1]
	s_and_saveexec_b64 s[42:43], vcc
	s_cbranch_execz .LBB10_74
; %bb.63:                               ;   in Loop: Header=BB10_59 Depth=1
	s_sleep 1
	flat_load_dwordx2 v[48:49], v[38:39] glc
	v_cmp_eq_u32_e32 vcc, 0, v23
	s_and_saveexec_b64 s[44:45], vcc
	s_cbranch_execz .LBB10_73
; %bb.64:                               ;   in Loop: Header=BB10_59 Depth=1
	v_cndmask_b32_e64 v9, 0, 1, vcc
	s_mov_b64 s[46:47], 0
                                        ; implicit-def: $sgpr48_sgpr49
	s_branch .LBB10_68
.LBB10_65:                              ;   in Loop: Header=BB10_68 Depth=2
	s_or_b64 exec, exec, s[56:57]
	s_orn2_b64 s[54:55], s[54:55], exec
.LBB10_66:                              ;   in Loop: Header=BB10_68 Depth=2
	s_or_b64 exec, exec, s[52:53]
	s_xor_b64 vcc, s[54:55], -1
	s_andn2_b64 s[48:49], s[48:49], exec
	s_and_b64 vcc, vcc, exec
	s_or_b64 s[48:49], s[48:49], vcc
.LBB10_67:                              ;   in Loop: Header=BB10_68 Depth=2
	s_or_b64 exec, exec, s[50:51]
	s_and_b64 vcc, exec, s[48:49]
	s_or_b64 s[46:47], vcc, s[46:47]
	s_andn2_b64 exec, exec, s[46:47]
	s_cbranch_execz .LBB10_72
.LBB10_68:                              ;   Parent Loop BB10_59 Depth=1
                                        ; =>  This Inner Loop Header: Depth=2
	s_waitcnt vmcnt(0) lgkmcnt(0)
	v_add_co_u32_e32 v14, vcc, 8, v48
	v_addc_co_u32_e32 v15, vcc, 0, v49, vcc
	v_cmp_lt_u64_e32 vcc, v[14:15], v[0:1]
	v_mov_b32_e32 v23, 0
	s_or_b64 s[48:49], s[48:49], exec
	s_and_saveexec_b64 s[50:51], vcc
	s_cbranch_execz .LBB10_67
; %bb.69:                               ;   in Loop: Header=BB10_68 Depth=2
	s_sleep 1
	flat_load_dwordx2 v[48:49], v[38:39] glc
	v_add_u32_e32 v9, 1, v9
	v_cmp_eq_u32_e32 vcc, s58, v9
	s_mov_b64 s[54:55], -1
	v_mov_b32_e32 v23, 0
	s_and_saveexec_b64 s[52:53], vcc
	s_cbranch_execz .LBB10_66
; %bb.70:                               ;   in Loop: Header=BB10_68 Depth=2
	s_trap 2
	ds_read_b64 v[14:15], v0
	v_mov_b32_e32 v9, 0
	v_mov_b32_e32 v23, 0
	s_waitcnt vmcnt(0) lgkmcnt(0)
	flat_load_dword v13, v[14:15] glc
	s_waitcnt vmcnt(0) lgkmcnt(0)
	buffer_invl2
	buffer_wbinvl1_vol
	v_cmp_ne_u32_e32 vcc, 0, v13
	s_and_saveexec_b64 s[56:57], vcc
	s_cbranch_execz .LBB10_65
; %bb.71:                               ;   in Loop: Header=BB10_68 Depth=2
	v_mov_b32_e32 v23, 1
	s_xor_b64 s[54:55], exec, -1
	ds_write_b32 v0, v13
	s_trap 2
	s_branch .LBB10_65
.LBB10_72:                              ;   in Loop: Header=BB10_59 Depth=1
	s_or_b64 exec, exec, s[46:47]
.LBB10_73:                              ;   in Loop: Header=BB10_59 Depth=1
	s_or_b64 exec, exec, s[44:45]
.LBB10_74:                              ;   in Loop: Header=BB10_59 Depth=1
	s_or_b64 exec, exec, s[42:43]
	s_and_saveexec_b64 s[42:43], s[12:13]
	s_cbranch_execz .LBB10_76
; %bb.75:                               ;   in Loop: Header=BB10_59 Depth=1
	v_add_u32_e32 v9, 7, v10
	v_ashrrev_i32_e32 v13, 31, v9
	v_lshrrev_b32_e32 v13, 29, v13
	v_add_u32_e32 v9, v9, v13
	v_and_b32_e32 v52, 0x7ffffff8, v8
	v_lshrrev_b32_e32 v9, 3, v9
	v_cmp_eq_u64_e32 vcc, s[36:37], v[52:53]
	v_cndmask_b32_e32 v9, v9, v62, vcc
	v_lshlrev_b32_e32 v14, 4, v9
	v_and_b32_e32 v8, 7, v8
	v_ashrrev_i32_e32 v15, 31, v14
	v_mad_u64_u32 v[8:9], vcc, v8, 24, v[6:7]
	flat_store_dwordx2 v[8:9], v[14:15] offset:8
	s_waitcnt vmcnt(0)
.LBB10_76:                              ;   in Loop: Header=BB10_59 Depth=1
	s_or_b64 exec, exec, s[42:43]
	v_pk_mov_b32 v[8:9], v[0:1], v[0:1] op_sel:[0,1]
.LBB10_77:                              ;   in Loop: Header=BB10_59 Depth=1
	s_or_b64 exec, exec, s[20:21]
	s_and_saveexec_b64 s[20:21], s[14:15]
	s_cbranch_execz .LBB10_96
; %bb.78:                               ;   in Loop: Header=BB10_59 Depth=1
	s_and_saveexec_b64 vcc, s[30:31]
	s_xor_b64 s[42:43], exec, vcc
	s_cbranch_execz .LBB10_93
; %bb.79:                               ;   in Loop: Header=BB10_59 Depth=1
	s_and_saveexec_b64 s[44:45], s[16:17]
	s_cbranch_execz .LBB10_92
; %bb.80:                               ;   in Loop: Header=BB10_59 Depth=1
	s_mov_b64 s[48:49], exec
	v_mbcnt_lo_u32_b32 v0, s48, 0
	v_mbcnt_hi_u32_b32 v0, s49, v0
	v_cmp_eq_u32_e32 vcc, 0, v0
	s_waitcnt vmcnt(0) lgkmcnt(0)
	buffer_wbinvl1_vol
	s_and_saveexec_b64 s[46:47], vcc
	s_cbranch_execz .LBB10_82
; %bb.81:                               ;   in Loop: Header=BB10_59 Depth=1
	s_bcnt1_i32_b64 vcc_lo, s[48:49]
	v_mov_b32_e32 v52, vcc_lo
	ds_add_u64 v0, v[52:53]
	s_trap 2
.LBB10_82:                              ;   in Loop: Header=BB10_59 Depth=1
	s_or_b64 exec, exec, s[46:47]
	s_trap 2
	ds_read_b64 v[0:1], v0
	v_accvgpr_read_b32 v14, a16
	v_add_co_u32_e32 v40, vcc, v40, v14
	v_accvgpr_read_b32 v13, a17
	v_addc_co_u32_e32 v41, vcc, v41, v13, vcc
	s_waitcnt lgkmcnt(0)
	v_cmp_lt_u64_e32 vcc, v[0:1], v[40:41]
	s_and_saveexec_b64 s[46:47], vcc
	s_cbranch_execz .LBB10_91
; %bb.83:                               ;   in Loop: Header=BB10_59 Depth=1
	s_mov_b32 s59, 0
	s_mov_b64 s[48:49], 0
                                        ; implicit-def: $sgpr50_sgpr51
                                        ; implicit-def: $sgpr52_sgpr53
	s_branch .LBB10_85
.LBB10_84:                              ;   in Loop: Header=BB10_85 Depth=2
	s_or_b64 exec, exec, s[56:57]
	s_and_b64 vcc, exec, vcc
	s_or_b64 s[48:49], vcc, s[48:49]
	s_andn2_b64 vcc, s[50:51], exec
	s_and_b64 s[50:51], s[52:53], exec
	s_or_b64 s[50:51], vcc, s[50:51]
	s_andn2_b64 exec, exec, s[48:49]
	s_cbranch_execz .LBB10_89
.LBB10_85:                              ;   Parent Loop BB10_59 Depth=1
                                        ; =>  This Inner Loop Header: Depth=2
	s_add_i32 s59, s59, 1
	s_cmpk_lg_i32 s59, 0x2710
	s_cselect_b64 s[54:55], -1, 0
	s_and_b64 vcc, exec, s[54:55]
                                        ; implicit-def: $sgpr56_sgpr57
	s_cbranch_vccnz .LBB10_87
; %bb.86:                               ;   in Loop: Header=BB10_85 Depth=2
	s_trap 2
	ds_read_b64 v[0:1], v0
	s_andn2_b64 s[54:55], s[54:55], exec
	s_mov_b32 s59, 0
	s_mov_b64 s[56:57], -1
	s_waitcnt lgkmcnt(0)
	flat_load_dword v0, v[0:1] glc
	s_waitcnt vmcnt(0) lgkmcnt(0)
	buffer_invl2
	buffer_wbinvl1_vol
	v_cmp_eq_u32_e32 vcc, 0, v0
	s_and_b64 vcc, vcc, exec
	s_or_b64 s[54:55], s[54:55], vcc
.LBB10_87:                              ;   in Loop: Header=BB10_85 Depth=2
	s_andn2_b64 s[52:53], s[52:53], exec
	s_and_b64 s[56:57], s[56:57], exec
	s_mov_b64 vcc, -1
	s_or_b64 s[52:53], s[52:53], s[56:57]
	s_and_saveexec_b64 s[56:57], s[54:55]
	s_cbranch_execz .LBB10_84
; %bb.88:                               ;   in Loop: Header=BB10_85 Depth=2
	s_sleep 1
	s_trap 2
	ds_read_b64 v[0:1], v0
	s_andn2_b64 s[52:53], s[52:53], exec
	s_waitcnt lgkmcnt(0)
	v_cmp_ge_u64_e32 vcc, v[0:1], v[40:41]
	s_orn2_b64 vcc, vcc, exec
	s_branch .LBB10_84
.LBB10_89:                              ;   in Loop: Header=BB10_59 Depth=1
	s_or_b64 exec, exec, s[48:49]
	s_and_saveexec_b64 vcc, s[50:51]
	s_xor_b64 vcc, exec, vcc
	s_cbranch_execz .LBB10_91
; %bb.90:                               ;   in Loop: Header=BB10_59 Depth=1
	v_mov_b32_e32 v0, 1
	ds_write_b32 v0, v0
	s_trap 2
.LBB10_91:                              ;   in Loop: Header=BB10_59 Depth=1
	s_or_b64 exec, exec, s[46:47]
	;;#ASMSTART
	s_wakeup
	;;#ASMEND
.LBB10_92:                              ;   in Loop: Header=BB10_59 Depth=1
	s_or_b64 exec, exec, s[44:45]
.LBB10_93:                              ;   in Loop: Header=BB10_59 Depth=1
	s_andn2_saveexec_b64 vcc, s[42:43]
	s_cbranch_execz .LBB10_95
; %bb.94:                               ;   in Loop: Header=BB10_59 Depth=1
	s_waitcnt vmcnt(0) lgkmcnt(0)
	buffer_wbinvl1_vol
	s_barrier
.LBB10_95:                              ;   in Loop: Header=BB10_59 Depth=1
	s_or_b64 exec, exec, vcc
.LBB10_96:                              ;   in Loop: Header=BB10_59 Depth=1
	s_or_b64 exec, exec, s[20:21]
	v_sub_u32_e32 v52, v10, v42
	v_cmp_lt_i32_e32 vcc, 0, v52
	v_mov_b32_e32 v0, v22
	s_and_saveexec_b64 s[42:43], vcc
	s_cbranch_execnz .LBB10_124
; %bb.97:                               ;   in Loop: Header=BB10_59 Depth=1
	s_or_b64 exec, exec, s[42:43]
	s_and_saveexec_b64 s[20:21], s[14:15]
	s_cbranch_execnz .LBB10_189
.LBB10_98:                              ;   in Loop: Header=BB10_59 Depth=1
	s_or_b64 exec, exec, s[20:21]
	s_and_saveexec_b64 s[20:21], s[18:19]
	s_cbranch_execz .LBB10_100
.LBB10_99:                              ;   in Loop: Header=BB10_59 Depth=1
	v_add_co_u32_e32 v34, vcc, 1, v34
	v_accvgpr_read_b32 v10, a12
	v_addc_co_u32_e32 v35, vcc, 0, v35, vcc
	v_accvgpr_read_b32 v11, a13
	flat_store_dwordx2 v[10:11], v[34:35]
.LBB10_100:                             ;   in Loop: Header=BB10_59 Depth=1
	s_or_b64 exec, exec, s[20:21]
	v_and_b32_e32 v52, 0x7ffffff8, v32
	v_cmp_eq_u64_e32 vcc, s[36:37], v[52:53]
	v_cmp_gt_i32_e64 s[20:21], v62, v0
	s_and_b64 s[20:21], vcc, s[20:21]
	s_and_saveexec_b64 s[42:43], s[20:21]
	s_cbranch_execz .LBB10_103
; %bb.101:                              ;   in Loop: Header=BB10_59 Depth=1
	v_and_b32_e32 v1, 7, v32
	v_mul_lo_u32 v12, v1, v62
	v_mov_b32_e32 v1, v32
	v_add_co_u32_e64 v10, vcc, 0, 0
	v_ashrrev_i32_e32 v13, 31, v12
	v_addc_co_u32_e32 v11, vcc, 1, v1, vcc
	v_ashrrev_i32_e32 v1, 31, v0
	v_lshlrev_b64 v[14:15], 4, v[0:1]
	v_lshlrev_b64 v[12:13], 4, v[12:13]
	v_add_co_u32_e32 v1, vcc, v14, v12
	v_addc_co_u32_e32 v12, vcc, v15, v13, vcc
	v_accvgpr_read_b32 v15, a11
	v_accvgpr_read_b32 v14, a10
	v_add_co_u32_e32 v14, vcc, v14, v1
	v_addc_co_u32_e32 v15, vcc, v15, v12, vcc
	s_mov_b64 s[44:45], 0
.LBB10_102:                             ;   Parent Loop BB10_59 Depth=1
                                        ; =>  This Inner Loop Header: Depth=2
	v_mov_b32_e32 v12, v10
	v_mov_b32_e32 v13, v11
	v_add_u32_e32 v0, v0, v2
	global_store_dwordx4 v[14:15], v[10:13], off
	v_cmp_ge_i32_e32 vcc, v0, v62
	v_add_co_u32_e64 v14, s[20:21], v14, v46
	s_or_b64 s[44:45], vcc, s[44:45]
	v_addc_co_u32_e64 v15, vcc, v15, v47, s[20:21]
	s_andn2_b64 exec, exec, s[44:45]
	s_cbranch_execnz .LBB10_102
.LBB10_103:                             ;   in Loop: Header=BB10_59 Depth=1
	s_or_b64 exec, exec, s[42:43]
	v_add_co_u32_e32 v26, vcc, 1, v26
	v_addc_co_u32_e32 v27, vcc, 0, v27, vcc
	v_add_co_u32_e32 v32, vcc, 1, v32
	v_addc_co_u32_e32 v33, vcc, 0, v33, vcc
                                        ; implicit-def: $vgpr10
                                        ; implicit-def: $vgpr11
                                        ; implicit-def: $vgpr12
.LBB10_104:                             ;   in Loop: Header=BB10_59 Depth=1
	s_andn2_saveexec_b64 s[40:41], s[40:41]
	s_cbranch_execz .LBB10_116
; %bb.105:                              ;   in Loop: Header=BB10_59 Depth=1
	v_sub_u32_e32 v20, v10, v42
	v_cmp_lt_i32_e32 vcc, 0, v20
	s_and_saveexec_b64 s[42:43], vcc
	s_cbranch_execnz .LBB10_156
; %bb.106:                              ;   in Loop: Header=BB10_59 Depth=1
	s_or_b64 exec, exec, s[42:43]
	s_and_saveexec_b64 s[20:21], s[14:15]
	s_cbranch_execnz .LBB10_201
.LBB10_107:                             ;   in Loop: Header=BB10_59 Depth=1
	s_or_b64 exec, exec, s[20:21]
	s_and_saveexec_b64 s[20:21], s[18:19]
	s_cbranch_execz .LBB10_109
.LBB10_108:                             ;   in Loop: Header=BB10_59 Depth=1
	v_add_co_u32_e32 v34, vcc, 1, v34
	v_accvgpr_read_b32 v0, a12
	v_addc_co_u32_e32 v35, vcc, 0, v35, vcc
	v_accvgpr_read_b32 v1, a13
	flat_store_dwordx2 v[0:1], v[34:35]
.LBB10_109:                             ;   in Loop: Header=BB10_59 Depth=1
	s_or_b64 exec, exec, s[20:21]
	v_add_co_u32_e32 v26, vcc, 1, v26
	v_addc_co_u32_e32 v27, vcc, 0, v27, vcc
	s_or_b64 exec, exec, s[40:41]
                                        ; implicit-def: $vgpr10
.LBB10_110:                             ;   in Loop: Header=BB10_59 Depth=1
	s_andn2_saveexec_b64 s[38:39], s[38:39]
	s_cbranch_execz .LBB10_58
.LBB10_111:                             ;   in Loop: Header=BB10_59 Depth=1
	v_add_u32_e32 v0, 7, v10
	v_ashrrev_i32_e32 v1, 31, v0
	v_lshrrev_b32_e32 v1, 29, v1
	v_add_u32_e32 v0, v0, v1
	v_ashrrev_i32_e32 v11, 3, v0
	s_and_saveexec_b64 s[20:21], s[34:35]
	s_xor_b64 s[40:41], exec, s[20:21]
	s_cbranch_execz .LBB10_280
; %bb.112:                              ;   in Loop: Header=BB10_59 Depth=1
	s_and_saveexec_b64 s[20:21], s[10:11]
	s_cbranch_execz .LBB10_217
; %bb.113:                              ;   in Loop: Header=BB10_59 Depth=1
	v_add_co_u32_e32 v0, vcc, 1, v8
	v_addc_co_u32_e32 v1, vcc, 0, v9, vcc
	s_waitcnt vmcnt(0) lgkmcnt(0)
	v_add_co_u32_e32 v12, vcc, 8, v48
	v_addc_co_u32_e32 v13, vcc, 0, v49, vcc
	v_cmp_lt_u64_e32 vcc, v[12:13], v[0:1]
	s_and_saveexec_b64 s[42:43], vcc
	s_cbranch_execz .LBB10_214
; %bb.114:                              ;   in Loop: Header=BB10_59 Depth=1
	s_sleep 1
	flat_load_dwordx2 v[48:49], v[38:39] glc
	v_cmp_eq_u32_e32 vcc, 0, v23
	s_and_saveexec_b64 s[44:45], vcc
	s_cbranch_execz .LBB10_213
; %bb.115:                              ;   in Loop: Header=BB10_59 Depth=1
	v_cndmask_b32_e64 v9, 0, 1, vcc
	s_mov_b64 s[46:47], 0
                                        ; implicit-def: $sgpr48_sgpr49
	s_branch .LBB10_120
.LBB10_116:                             ;   in Loop: Header=BB10_59 Depth=1
	s_or_b64 exec, exec, s[40:41]
                                        ; implicit-def: $vgpr10
	s_andn2_saveexec_b64 s[38:39], s[38:39]
	s_cbranch_execz .LBB10_58
	s_branch .LBB10_111
.LBB10_117:                             ;   in Loop: Header=BB10_120 Depth=2
	s_or_b64 exec, exec, s[56:57]
	s_orn2_b64 s[54:55], s[54:55], exec
.LBB10_118:                             ;   in Loop: Header=BB10_120 Depth=2
	s_or_b64 exec, exec, s[52:53]
	s_xor_b64 vcc, s[54:55], -1
	s_andn2_b64 s[48:49], s[48:49], exec
	s_and_b64 vcc, vcc, exec
	s_or_b64 s[48:49], s[48:49], vcc
.LBB10_119:                             ;   in Loop: Header=BB10_120 Depth=2
	s_or_b64 exec, exec, s[50:51]
	s_and_b64 vcc, exec, s[48:49]
	s_or_b64 s[46:47], vcc, s[46:47]
	s_andn2_b64 exec, exec, s[46:47]
	s_cbranch_execz .LBB10_212
.LBB10_120:                             ;   Parent Loop BB10_59 Depth=1
                                        ; =>  This Inner Loop Header: Depth=2
	s_waitcnt vmcnt(0) lgkmcnt(0)
	v_add_co_u32_e32 v12, vcc, 8, v48
	v_addc_co_u32_e32 v13, vcc, 0, v49, vcc
	v_cmp_lt_u64_e32 vcc, v[12:13], v[0:1]
	v_mov_b32_e32 v23, 0
	s_or_b64 s[48:49], s[48:49], exec
	s_and_saveexec_b64 s[50:51], vcc
	s_cbranch_execz .LBB10_119
; %bb.121:                              ;   in Loop: Header=BB10_120 Depth=2
	s_sleep 1
	flat_load_dwordx2 v[48:49], v[38:39] glc
	v_add_u32_e32 v9, 1, v9
	v_cmp_eq_u32_e32 vcc, s58, v9
	s_mov_b64 s[54:55], -1
	v_mov_b32_e32 v23, 0
	s_and_saveexec_b64 s[52:53], vcc
	s_cbranch_execz .LBB10_118
; %bb.122:                              ;   in Loop: Header=BB10_120 Depth=2
	s_trap 2
	ds_read_b64 v[12:13], v0
	v_mov_b32_e32 v9, 0
	v_mov_b32_e32 v23, 0
	s_waitcnt vmcnt(0) lgkmcnt(0)
	flat_load_dword v12, v[12:13] glc
	s_waitcnt vmcnt(0) lgkmcnt(0)
	buffer_invl2
	buffer_wbinvl1_vol
	v_cmp_ne_u32_e32 vcc, 0, v12
	s_and_saveexec_b64 s[56:57], vcc
	s_cbranch_execz .LBB10_117
; %bb.123:                              ;   in Loop: Header=BB10_120 Depth=2
	v_mov_b32_e32 v23, 1
	s_xor_b64 s[54:55], exec, -1
	ds_write_b32 v0, v12
	s_trap 2
	s_branch .LBB10_117
.LBB10_124:                             ;   in Loop: Header=BB10_59 Depth=1
	v_accvgpr_read_b32 v0, a18
	v_add_co_u32_e32 v20, vcc, v0, v11
	v_accvgpr_read_b32 v0, a19
	v_addc_co_u32_e32 v21, vcc, v0, v12, vcc
	v_and_b32_e32 v0, 7, v26
	v_mul_lo_u32 v0, v0, v62
	v_ashrrev_i32_e32 v1, 31, v0
	v_accvgpr_read_b32 v11, a9
	v_lshlrev_b64 v[0:1], 4, v[0:1]
	v_accvgpr_read_b32 v10, a8
	v_add_co_u32_e32 v54, vcc, v10, v0
	v_and_b32_e32 v0, 7, v32
	v_mul_lo_u32 v0, v0, v62
	v_addc_co_u32_e32 v55, vcc, v11, v1, vcc
	v_ashrrev_i32_e32 v1, 31, v0
	v_lshlrev_b64 v[0:1], 4, v[0:1]
	v_accvgpr_read_b32 v10, a10
	v_accvgpr_read_b32 v11, a11
	v_add_co_u32_e32 v31, vcc, v10, v0
	v_addc_co_u32_e32 v28, vcc, v11, v1, vcc
	v_mov_b32_e32 v1, v32
	v_add_co_u32_e64 v29, vcc, 0, 0
	v_add_u32_e32 v25, 1, v26
	v_addc_co_u32_e32 v11, vcc, 1, v1, vcc
	s_mov_b64 s[44:45], 0
	v_mov_b32_e32 v0, v22
	s_branch .LBB10_126
.LBB10_125:                             ;   in Loop: Header=BB10_126 Depth=2
	v_add_co_u32_e32 v20, vcc, v20, v44
	v_addc_co_u32_e32 v21, vcc, v21, v45, vcc
	v_sub_u32_e32 v52, v52, v44
	v_cmp_gt_i32_e32 vcc, 1, v52
	s_or_b64 s[44:45], vcc, s[44:45]
	v_add_u32_e32 v0, v0, v2
	s_andn2_b64 exec, exec, s[44:45]
	s_cbranch_execz .LBB10_188
.LBB10_126:                             ;   Parent Loop BB10_59 Depth=1
                                        ; =>  This Loop Header: Depth=2
                                        ;       Child Loop BB10_130 Depth 3
	v_ashrrev_i32_e32 v1, 31, v0
	v_lshlrev_b64 v[12:13], 4, v[0:1]
	v_add_co_u32_e32 v36, vcc, v54, v12
	v_addc_co_u32_e32 v37, vcc, v55, v13, vcc
	global_load_dwordx4 v[14:17], v[36:37], off glc slc
	v_cmp_eq_u32_e32 vcc, 0, v23
	s_and_saveexec_b64 s[46:47], vcc
	s_cbranch_execz .LBB10_138
; %bb.127:                              ;   in Loop: Header=BB10_126 Depth=2
	s_waitcnt vmcnt(0)
	v_cmp_ne_u32_e32 vcc, v25, v15
	v_cmp_ne_u32_e64 s[20:21], v25, v17
	s_or_b64 s[20:21], vcc, s[20:21]
	v_mov_b32_e32 v23, 0
	s_and_saveexec_b64 s[48:49], s[20:21]
	s_cbranch_execz .LBB10_137
; %bb.128:                              ;   in Loop: Header=BB10_126 Depth=2
	s_mov_b32 s54, 1
	s_mov_b64 s[50:51], 0
	v_mov_b32_e32 v23, 0
	s_branch .LBB10_130
.LBB10_129:                             ;   in Loop: Header=BB10_130 Depth=3
	s_or_b64 exec, exec, s[52:53]
	s_and_b64 s[20:21], exec, s[20:21]
	s_or_b64 s[50:51], s[20:21], s[50:51]
	s_andn2_b64 exec, exec, s[50:51]
	s_cbranch_execz .LBB10_136
.LBB10_130:                             ;   Parent Loop BB10_59 Depth=1
                                        ;     Parent Loop BB10_126 Depth=2
                                        ; =>    This Inner Loop Header: Depth=3
	global_load_dwordx4 v[14:17], v[36:37], off glc slc
	s_add_i32 s54, s54, 1
	s_cmpk_lg_i32 s54, 0x2710
	s_cbranch_scc1 .LBB10_134
; %bb.131:                              ;   in Loop: Header=BB10_130 Depth=3
	s_trap 2
	ds_read_b64 v[18:19], v0
	s_waitcnt vmcnt(0) lgkmcnt(0)
	flat_load_dword v1, v[18:19] glc
	s_waitcnt vmcnt(0) lgkmcnt(0)
	buffer_invl2
	buffer_wbinvl1_vol
	v_cmp_ne_u32_e32 vcc, 0, v1
	s_and_saveexec_b64 s[20:21], vcc
	s_cbranch_execz .LBB10_133
; %bb.132:                              ;   in Loop: Header=BB10_130 Depth=3
	v_mov_b32_e32 v23, 1
	ds_write_b32 v0, v1
	s_trap 2
.LBB10_133:                             ;   in Loop: Header=BB10_130 Depth=3
	s_or_b64 exec, exec, s[20:21]
	s_mov_b32 s54, 0
	v_mov_b32_e32 v1, v23
	v_cmp_eq_u32_e32 vcc, 0, v1
	s_mov_b64 s[20:21], -1
	s_and_saveexec_b64 s[52:53], vcc
	s_cbranch_execz .LBB10_129
	s_branch .LBB10_135
.LBB10_134:                             ;   in Loop: Header=BB10_130 Depth=3
	v_mov_b32_e32 v1, 0
	v_cmp_eq_u32_e32 vcc, 0, v1
	s_mov_b64 s[20:21], -1
	s_and_saveexec_b64 s[52:53], vcc
	s_cbranch_execz .LBB10_129
.LBB10_135:                             ;   in Loop: Header=BB10_130 Depth=3
	s_waitcnt vmcnt(0)
	v_cmp_eq_u32_e32 vcc, v25, v15
	v_cmp_eq_u32_e64 s[20:21], v25, v17
	s_and_b64 s[20:21], vcc, s[20:21]
	s_orn2_b64 s[20:21], s[20:21], exec
	s_branch .LBB10_129
.LBB10_136:                             ;   in Loop: Header=BB10_126 Depth=2
	s_or_b64 exec, exec, s[50:51]
.LBB10_137:                             ;   in Loop: Header=BB10_126 Depth=2
	s_or_b64 exec, exec, s[48:49]
.LBB10_138:                             ;   in Loop: Header=BB10_126 Depth=2
	s_or_b64 exec, exec, s[46:47]
	v_add_co_u32_e32 v18, vcc, v31, v12
	v_addc_co_u32_e32 v19, vcc, v28, v13, vcc
	s_waitcnt vmcnt(0)
	v_or_b32_e32 v10, v14, v29
	v_or_b32_e32 v12, v16, v29
	v_mov_b32_e32 v13, v11
	v_cmp_lt_u32_e32 vcc, 7, v52
	global_store_dwordx4 v[18:19], v[10:13], off
	v_mov_b32_e32 v1, v16
	v_cndmask_b32_e64 v10, 0, 1, vcc
	;;#ASMSTART
	;;#ASMEND
	v_cmp_ne_u32_e64 s[20:21], 0, v10
	s_cmp_lg_u64 s[20:21], exec
	s_mov_b64 s[20:21], -1
	s_cbranch_scc0 .LBB10_148
; %bb.139:                              ;   in Loop: Header=BB10_126 Depth=2
	v_cmp_ne_u32_e64 s[20:21], 1, v52
	flat_store_byte v[20:21], v14
	s_and_saveexec_b64 s[46:47], s[20:21]
	s_cbranch_execnz .LBB10_150
; %bb.140:                              ;   in Loop: Header=BB10_126 Depth=2
	s_or_b64 exec, exec, s[46:47]
	v_cmp_lt_u32_e64 s[20:21], 2, v52
	s_and_saveexec_b64 s[46:47], s[20:21]
	s_cbranch_execnz .LBB10_151
.LBB10_141:                             ;   in Loop: Header=BB10_126 Depth=2
	s_or_b64 exec, exec, s[46:47]
	v_cmp_lt_u32_e64 s[20:21], 3, v52
	s_and_saveexec_b64 s[46:47], s[20:21]
	s_cbranch_execnz .LBB10_152
.LBB10_142:                             ;   in Loop: Header=BB10_126 Depth=2
	s_or_b64 exec, exec, s[46:47]
	v_cmp_lt_u32_e64 s[20:21], 4, v52
	s_and_saveexec_b64 s[46:47], s[20:21]
	s_cbranch_execnz .LBB10_153
.LBB10_143:                             ;   in Loop: Header=BB10_126 Depth=2
	s_or_b64 exec, exec, s[46:47]
	v_cmp_lt_u32_e64 s[20:21], 5, v52
	s_and_saveexec_b64 s[46:47], s[20:21]
	s_cbranch_execnz .LBB10_154
.LBB10_144:                             ;   in Loop: Header=BB10_126 Depth=2
	s_or_b64 exec, exec, s[46:47]
	v_cmp_lt_u32_e64 s[20:21], 6, v52
	s_and_saveexec_b64 s[46:47], s[20:21]
	s_cbranch_execnz .LBB10_155
.LBB10_145:                             ;   in Loop: Header=BB10_126 Depth=2
	s_or_b64 exec, exec, s[46:47]
	s_and_saveexec_b64 s[20:21], vcc
	s_cbranch_execz .LBB10_147
.LBB10_146:                             ;   in Loop: Header=BB10_126 Depth=2
	v_lshrrev_b32_e32 v10, 24, v1
	flat_store_byte v[20:21], v10 offset:7
.LBB10_147:                             ;   in Loop: Header=BB10_126 Depth=2
	s_or_b64 exec, exec, s[20:21]
	s_mov_b64 s[20:21], 0
.LBB10_148:                             ;   in Loop: Header=BB10_126 Depth=2
	s_and_b64 vcc, exec, s[20:21]
	s_cbranch_vccz .LBB10_125
; %bb.149:                              ;   in Loop: Header=BB10_126 Depth=2
	v_or_b32_e32 v15, 0, v1
	global_store_dwordx2 v[20:21], v[14:15], off
	s_branch .LBB10_125
.LBB10_150:                             ;   in Loop: Header=BB10_126 Depth=2
	v_lshrrev_b32_e32 v10, 8, v14
	flat_store_byte v[20:21], v10 offset:1
	s_or_b64 exec, exec, s[46:47]
	v_cmp_lt_u32_e64 s[20:21], 2, v52
	s_and_saveexec_b64 s[46:47], s[20:21]
	s_cbranch_execz .LBB10_141
.LBB10_151:                             ;   in Loop: Header=BB10_126 Depth=2
	flat_store_byte_d16_hi v[20:21], v14 offset:2
	s_or_b64 exec, exec, s[46:47]
	v_cmp_lt_u32_e64 s[20:21], 3, v52
	s_and_saveexec_b64 s[46:47], s[20:21]
	s_cbranch_execz .LBB10_142
.LBB10_152:                             ;   in Loop: Header=BB10_126 Depth=2
	v_lshrrev_b32_e32 v10, 24, v14
	flat_store_byte v[20:21], v10 offset:3
	s_or_b64 exec, exec, s[46:47]
	v_cmp_lt_u32_e64 s[20:21], 4, v52
	s_and_saveexec_b64 s[46:47], s[20:21]
	s_cbranch_execz .LBB10_143
.LBB10_153:                             ;   in Loop: Header=BB10_126 Depth=2
	flat_store_byte v[20:21], v16 offset:4
	s_or_b64 exec, exec, s[46:47]
	v_cmp_lt_u32_e64 s[20:21], 5, v52
	s_and_saveexec_b64 s[46:47], s[20:21]
	s_cbranch_execz .LBB10_144
.LBB10_154:                             ;   in Loop: Header=BB10_126 Depth=2
	v_lshrrev_b32_e32 v10, 8, v1
	flat_store_byte v[20:21], v10 offset:5
	s_or_b64 exec, exec, s[46:47]
	v_cmp_lt_u32_e64 s[20:21], 6, v52
	s_and_saveexec_b64 s[46:47], s[20:21]
	s_cbranch_execz .LBB10_145
.LBB10_155:                             ;   in Loop: Header=BB10_126 Depth=2
	flat_store_byte_d16_hi v[20:21], v1 offset:6
	s_or_b64 exec, exec, s[46:47]
	s_and_saveexec_b64 s[20:21], vcc
	s_cbranch_execnz .LBB10_146
	s_branch .LBB10_147
.LBB10_156:                             ;   in Loop: Header=BB10_59 Depth=1
	v_accvgpr_read_b32 v0, a18
	v_and_b32_e32 v10, 7, v26
	v_add_co_u32_e32 v0, vcc, v0, v11
	v_accvgpr_read_b32 v1, a19
	v_mul_lo_u32 v10, v10, v62
	v_addc_co_u32_e32 v1, vcc, v1, v12, vcc
	v_ashrrev_i32_e32 v11, 31, v10
	v_accvgpr_read_b32 v13, a9
	v_lshlrev_b64 v[10:11], 4, v[10:11]
	v_accvgpr_read_b32 v12, a8
	v_add_co_u32_e32 v21, vcc, v12, v10
	v_addc_co_u32_e32 v25, vcc, v13, v11, vcc
	v_add_u32_e32 v28, 1, v26
	s_mov_b64 s[44:45], 0
	v_mov_b32_e32 v14, v22
	s_branch .LBB10_158
.LBB10_157:                             ;   in Loop: Header=BB10_158 Depth=2
	v_add_co_u32_e32 v0, vcc, v0, v44
	v_addc_co_u32_e32 v1, vcc, v1, v45, vcc
	v_sub_u32_e32 v20, v20, v44
	v_cmp_gt_i32_e32 vcc, 1, v20
	s_or_b64 s[44:45], vcc, s[44:45]
	v_add_u32_e32 v14, v14, v2
	s_andn2_b64 exec, exec, s[44:45]
	s_cbranch_execz .LBB10_200
.LBB10_158:                             ;   Parent Loop BB10_59 Depth=1
                                        ; =>  This Loop Header: Depth=2
                                        ;       Child Loop BB10_162 Depth 3
	v_ashrrev_i32_e32 v15, 31, v14
	v_lshlrev_b64 v[10:11], 4, v[14:15]
	v_add_co_u32_e32 v16, vcc, v21, v10
	v_addc_co_u32_e32 v17, vcc, v25, v11, vcc
	global_load_dwordx4 v[10:13], v[16:17], off glc slc
	v_cmp_eq_u32_e32 vcc, 0, v23
	s_and_saveexec_b64 s[46:47], vcc
	s_cbranch_execz .LBB10_170
; %bb.159:                              ;   in Loop: Header=BB10_158 Depth=2
	s_waitcnt vmcnt(0)
	v_cmp_ne_u32_e32 vcc, v28, v11
	v_cmp_ne_u32_e64 s[20:21], v28, v13
	s_or_b64 s[20:21], vcc, s[20:21]
	v_mov_b32_e32 v23, 0
	s_and_saveexec_b64 s[48:49], s[20:21]
	s_cbranch_execz .LBB10_169
; %bb.160:                              ;   in Loop: Header=BB10_158 Depth=2
	s_mov_b32 s54, 1
	s_mov_b64 s[50:51], 0
	v_mov_b32_e32 v23, 0
	s_branch .LBB10_162
.LBB10_161:                             ;   in Loop: Header=BB10_162 Depth=3
	s_or_b64 exec, exec, s[52:53]
	s_and_b64 s[20:21], exec, s[20:21]
	s_or_b64 s[50:51], s[20:21], s[50:51]
	s_andn2_b64 exec, exec, s[50:51]
	s_cbranch_execz .LBB10_168
.LBB10_162:                             ;   Parent Loop BB10_59 Depth=1
                                        ;     Parent Loop BB10_158 Depth=2
                                        ; =>    This Inner Loop Header: Depth=3
	global_load_dwordx4 v[10:13], v[16:17], off glc slc
	s_add_i32 s54, s54, 1
	s_cmpk_lg_i32 s54, 0x2710
	s_cbranch_scc1 .LBB10_166
; %bb.163:                              ;   in Loop: Header=BB10_162 Depth=3
	s_trap 2
	ds_read_b64 v[36:37], v0
	s_waitcnt vmcnt(0) lgkmcnt(0)
	flat_load_dword v15, v[36:37] glc
	s_waitcnt vmcnt(0) lgkmcnt(0)
	buffer_invl2
	buffer_wbinvl1_vol
	v_cmp_ne_u32_e32 vcc, 0, v15
	s_and_saveexec_b64 s[20:21], vcc
	s_cbranch_execz .LBB10_165
; %bb.164:                              ;   in Loop: Header=BB10_162 Depth=3
	v_mov_b32_e32 v23, 1
	ds_write_b32 v0, v15
	s_trap 2
.LBB10_165:                             ;   in Loop: Header=BB10_162 Depth=3
	s_or_b64 exec, exec, s[20:21]
	s_mov_b32 s54, 0
	v_mov_b32_e32 v15, v23
	v_cmp_eq_u32_e32 vcc, 0, v15
	s_mov_b64 s[20:21], -1
	s_and_saveexec_b64 s[52:53], vcc
	s_cbranch_execz .LBB10_161
	s_branch .LBB10_167
.LBB10_166:                             ;   in Loop: Header=BB10_162 Depth=3
	v_mov_b32_e32 v15, 0
	v_cmp_eq_u32_e32 vcc, 0, v15
	s_mov_b64 s[20:21], -1
	s_and_saveexec_b64 s[52:53], vcc
	s_cbranch_execz .LBB10_161
.LBB10_167:                             ;   in Loop: Header=BB10_162 Depth=3
	s_waitcnt vmcnt(0)
	v_cmp_eq_u32_e32 vcc, v28, v11
	v_cmp_eq_u32_e64 s[20:21], v28, v13
	s_and_b64 s[20:21], vcc, s[20:21]
	s_orn2_b64 s[20:21], s[20:21], exec
	s_branch .LBB10_161
.LBB10_168:                             ;   in Loop: Header=BB10_158 Depth=2
	s_or_b64 exec, exec, s[50:51]
.LBB10_169:                             ;   in Loop: Header=BB10_158 Depth=2
	s_or_b64 exec, exec, s[48:49]
.LBB10_170:                             ;   in Loop: Header=BB10_158 Depth=2
	s_or_b64 exec, exec, s[46:47]
	v_cmp_lt_u32_e32 vcc, 7, v20
	s_waitcnt vmcnt(0)
	v_cndmask_b32_e64 v13, 0, 1, vcc
	;;#ASMSTART
	;;#ASMEND
	v_cmp_ne_u32_e64 s[20:21], 0, v13
	v_mov_b32_e32 v11, v12
	s_cmp_lg_u64 s[20:21], exec
	s_mov_b64 s[20:21], -1
	s_cbranch_scc0 .LBB10_180
; %bb.171:                              ;   in Loop: Header=BB10_158 Depth=2
	v_cmp_ne_u32_e64 s[20:21], 1, v20
	flat_store_byte v[0:1], v10
	s_and_saveexec_b64 s[46:47], s[20:21]
	s_cbranch_execnz .LBB10_182
; %bb.172:                              ;   in Loop: Header=BB10_158 Depth=2
	s_or_b64 exec, exec, s[46:47]
	v_cmp_lt_u32_e64 s[20:21], 2, v20
	s_and_saveexec_b64 s[46:47], s[20:21]
	s_cbranch_execnz .LBB10_183
.LBB10_173:                             ;   in Loop: Header=BB10_158 Depth=2
	s_or_b64 exec, exec, s[46:47]
	v_cmp_lt_u32_e64 s[20:21], 3, v20
	s_and_saveexec_b64 s[46:47], s[20:21]
	s_cbranch_execnz .LBB10_184
.LBB10_174:                             ;   in Loop: Header=BB10_158 Depth=2
	s_or_b64 exec, exec, s[46:47]
	v_cmp_lt_u32_e64 s[20:21], 4, v20
	s_and_saveexec_b64 s[46:47], s[20:21]
	s_cbranch_execnz .LBB10_185
.LBB10_175:                             ;   in Loop: Header=BB10_158 Depth=2
	s_or_b64 exec, exec, s[46:47]
	v_cmp_lt_u32_e64 s[20:21], 5, v20
	s_and_saveexec_b64 s[46:47], s[20:21]
	s_cbranch_execnz .LBB10_186
.LBB10_176:                             ;   in Loop: Header=BB10_158 Depth=2
	s_or_b64 exec, exec, s[46:47]
	v_cmp_lt_u32_e64 s[20:21], 6, v20
	s_and_saveexec_b64 s[46:47], s[20:21]
	s_cbranch_execnz .LBB10_187
.LBB10_177:                             ;   in Loop: Header=BB10_158 Depth=2
	s_or_b64 exec, exec, s[46:47]
	s_and_saveexec_b64 s[20:21], vcc
	s_cbranch_execz .LBB10_179
.LBB10_178:                             ;   in Loop: Header=BB10_158 Depth=2
	v_lshrrev_b32_e32 v12, 24, v11
	flat_store_byte v[0:1], v12 offset:7
.LBB10_179:                             ;   in Loop: Header=BB10_158 Depth=2
	s_or_b64 exec, exec, s[20:21]
	s_mov_b64 s[20:21], 0
.LBB10_180:                             ;   in Loop: Header=BB10_158 Depth=2
	s_and_b64 vcc, exec, s[20:21]
	s_cbranch_vccz .LBB10_157
; %bb.181:                              ;   in Loop: Header=BB10_158 Depth=2
	global_store_dwordx2 v[0:1], v[10:11], off
	s_branch .LBB10_157
.LBB10_182:                             ;   in Loop: Header=BB10_158 Depth=2
	v_lshrrev_b32_e32 v13, 8, v10
	flat_store_byte v[0:1], v13 offset:1
	s_or_b64 exec, exec, s[46:47]
	v_cmp_lt_u32_e64 s[20:21], 2, v20
	s_and_saveexec_b64 s[46:47], s[20:21]
	s_cbranch_execz .LBB10_173
.LBB10_183:                             ;   in Loop: Header=BB10_158 Depth=2
	flat_store_byte_d16_hi v[0:1], v10 offset:2
	s_or_b64 exec, exec, s[46:47]
	v_cmp_lt_u32_e64 s[20:21], 3, v20
	s_and_saveexec_b64 s[46:47], s[20:21]
	s_cbranch_execz .LBB10_174
.LBB10_184:                             ;   in Loop: Header=BB10_158 Depth=2
	v_lshrrev_b32_e32 v13, 24, v10
	flat_store_byte v[0:1], v13 offset:3
	s_or_b64 exec, exec, s[46:47]
	v_cmp_lt_u32_e64 s[20:21], 4, v20
	s_and_saveexec_b64 s[46:47], s[20:21]
	s_cbranch_execz .LBB10_175
.LBB10_185:                             ;   in Loop: Header=BB10_158 Depth=2
	flat_store_byte v[0:1], v12 offset:4
	s_or_b64 exec, exec, s[46:47]
	v_cmp_lt_u32_e64 s[20:21], 5, v20
	s_and_saveexec_b64 s[46:47], s[20:21]
	s_cbranch_execz .LBB10_176
.LBB10_186:                             ;   in Loop: Header=BB10_158 Depth=2
	v_lshrrev_b32_e32 v12, 8, v11
	flat_store_byte v[0:1], v12 offset:5
	s_or_b64 exec, exec, s[46:47]
	v_cmp_lt_u32_e64 s[20:21], 6, v20
	s_and_saveexec_b64 s[46:47], s[20:21]
	s_cbranch_execz .LBB10_177
.LBB10_187:                             ;   in Loop: Header=BB10_158 Depth=2
	flat_store_byte_d16_hi v[0:1], v11 offset:6
	s_or_b64 exec, exec, s[46:47]
	s_and_saveexec_b64 s[20:21], vcc
	s_cbranch_execnz .LBB10_178
	s_branch .LBB10_179
.LBB10_188:                             ;   in Loop: Header=BB10_59 Depth=1
	s_or_b64 exec, exec, s[44:45]
	v_accvgpr_read_b32 v19, a15
	v_accvgpr_read_b32 v18, a14
	;; [unrolled: 1-line block ×3, first 2 shown]
	s_or_b64 exec, exec, s[42:43]
	s_and_saveexec_b64 s[20:21], s[14:15]
	s_cbranch_execz .LBB10_98
.LBB10_189:                             ;   in Loop: Header=BB10_59 Depth=1
	s_and_saveexec_b64 vcc, s[30:31]
	s_xor_b64 s[42:43], exec, vcc
	s_cbranch_execz .LBB10_233
; %bb.190:                              ;   in Loop: Header=BB10_59 Depth=1
	s_and_saveexec_b64 s[44:45], s[16:17]
	s_cbranch_execz .LBB10_232
; %bb.191:                              ;   in Loop: Header=BB10_59 Depth=1
	s_mov_b64 s[48:49], exec
	v_mbcnt_lo_u32_b32 v1, s48, 0
	v_mbcnt_hi_u32_b32 v1, s49, v1
	v_cmp_eq_u32_e32 vcc, 0, v1
	s_waitcnt vmcnt(0) lgkmcnt(0)
	buffer_wbinvl1_vol
	s_and_saveexec_b64 s[46:47], vcc
	s_cbranch_execz .LBB10_193
; %bb.192:                              ;   in Loop: Header=BB10_59 Depth=1
	s_bcnt1_i32_b64 vcc_lo, s[48:49]
	v_mov_b32_e32 v52, vcc_lo
	ds_add_u64 v0, v[52:53]
	s_trap 2
.LBB10_193:                             ;   in Loop: Header=BB10_59 Depth=1
	s_or_b64 exec, exec, s[46:47]
	s_trap 2
	ds_read_b64 v[10:11], v0
	v_accvgpr_read_b32 v12, a16
	v_add_co_u32_e32 v40, vcc, v40, v12
	v_accvgpr_read_b32 v1, a17
	v_addc_co_u32_e32 v41, vcc, v41, v1, vcc
	s_waitcnt lgkmcnt(0)
	v_cmp_lt_u64_e32 vcc, v[10:11], v[40:41]
	s_and_saveexec_b64 s[46:47], vcc
	s_cbranch_execz .LBB10_231
; %bb.194:                              ;   in Loop: Header=BB10_59 Depth=1
	s_mov_b32 s59, 0
	s_mov_b64 s[48:49], 0
                                        ; implicit-def: $sgpr50_sgpr51
                                        ; implicit-def: $sgpr52_sgpr53
	s_branch .LBB10_196
.LBB10_195:                             ;   in Loop: Header=BB10_196 Depth=2
	s_or_b64 exec, exec, s[56:57]
	s_and_b64 vcc, exec, vcc
	s_or_b64 s[48:49], vcc, s[48:49]
	s_andn2_b64 vcc, s[50:51], exec
	s_and_b64 s[50:51], s[52:53], exec
	s_or_b64 s[50:51], vcc, s[50:51]
	s_andn2_b64 exec, exec, s[48:49]
	s_cbranch_execz .LBB10_229
.LBB10_196:                             ;   Parent Loop BB10_59 Depth=1
                                        ; =>  This Inner Loop Header: Depth=2
	s_add_i32 s59, s59, 1
	s_cmpk_lg_i32 s59, 0x2710
	s_cselect_b64 s[54:55], -1, 0
	s_and_b64 vcc, exec, s[54:55]
                                        ; implicit-def: $sgpr56_sgpr57
	s_cbranch_vccnz .LBB10_198
; %bb.197:                              ;   in Loop: Header=BB10_196 Depth=2
	s_trap 2
	ds_read_b64 v[10:11], v0
	s_andn2_b64 s[54:55], s[54:55], exec
	s_mov_b32 s59, 0
	s_mov_b64 s[56:57], -1
	s_waitcnt lgkmcnt(0)
	flat_load_dword v1, v[10:11] glc
	s_waitcnt vmcnt(0) lgkmcnt(0)
	buffer_invl2
	buffer_wbinvl1_vol
	v_cmp_eq_u32_e32 vcc, 0, v1
	s_and_b64 vcc, vcc, exec
	s_or_b64 s[54:55], s[54:55], vcc
.LBB10_198:                             ;   in Loop: Header=BB10_196 Depth=2
	s_andn2_b64 s[52:53], s[52:53], exec
	s_and_b64 s[56:57], s[56:57], exec
	s_mov_b64 vcc, -1
	s_or_b64 s[52:53], s[52:53], s[56:57]
	s_and_saveexec_b64 s[56:57], s[54:55]
	s_cbranch_execz .LBB10_195
; %bb.199:                              ;   in Loop: Header=BB10_196 Depth=2
	s_sleep 1
	s_trap 2
	ds_read_b64 v[10:11], v0
	s_andn2_b64 s[52:53], s[52:53], exec
	s_waitcnt lgkmcnt(0)
	v_cmp_ge_u64_e32 vcc, v[10:11], v[40:41]
	s_orn2_b64 vcc, vcc, exec
	s_branch .LBB10_195
.LBB10_200:                             ;   in Loop: Header=BB10_59 Depth=1
	s_or_b64 exec, exec, s[44:45]
	v_accvgpr_read_b32 v19, a15
	v_accvgpr_read_b32 v18, a14
	s_or_b64 exec, exec, s[42:43]
	s_and_saveexec_b64 s[20:21], s[14:15]
	s_cbranch_execz .LBB10_107
.LBB10_201:                             ;   in Loop: Header=BB10_59 Depth=1
	s_and_saveexec_b64 vcc, s[30:31]
	s_xor_b64 s[42:43], exec, vcc
	s_cbranch_execz .LBB10_240
; %bb.202:                              ;   in Loop: Header=BB10_59 Depth=1
	s_and_saveexec_b64 s[44:45], s[16:17]
	s_cbranch_execz .LBB10_239
; %bb.203:                              ;   in Loop: Header=BB10_59 Depth=1
	s_mov_b64 s[48:49], exec
	v_mbcnt_lo_u32_b32 v0, s48, 0
	v_mbcnt_hi_u32_b32 v0, s49, v0
	v_cmp_eq_u32_e32 vcc, 0, v0
	s_waitcnt vmcnt(0) lgkmcnt(0)
	buffer_wbinvl1_vol
	s_and_saveexec_b64 s[46:47], vcc
	s_cbranch_execz .LBB10_205
; %bb.204:                              ;   in Loop: Header=BB10_59 Depth=1
	s_bcnt1_i32_b64 vcc_lo, s[48:49]
	v_mov_b32_e32 v52, vcc_lo
	ds_add_u64 v0, v[52:53]
	s_trap 2
.LBB10_205:                             ;   in Loop: Header=BB10_59 Depth=1
	s_or_b64 exec, exec, s[46:47]
	s_trap 2
	ds_read_b64 v[0:1], v0
	v_accvgpr_read_b32 v10, a16
	v_add_co_u32_e32 v40, vcc, v40, v10
	v_accvgpr_read_b32 v11, a17
	v_addc_co_u32_e32 v41, vcc, v41, v11, vcc
	s_waitcnt lgkmcnt(0)
	v_cmp_lt_u64_e32 vcc, v[0:1], v[40:41]
	s_and_saveexec_b64 s[46:47], vcc
	s_cbranch_execz .LBB10_238
; %bb.206:                              ;   in Loop: Header=BB10_59 Depth=1
	s_mov_b32 s59, 0
	s_mov_b64 s[48:49], 0
                                        ; implicit-def: $sgpr50_sgpr51
                                        ; implicit-def: $sgpr52_sgpr53
	s_branch .LBB10_208
.LBB10_207:                             ;   in Loop: Header=BB10_208 Depth=2
	s_or_b64 exec, exec, s[56:57]
	s_and_b64 vcc, exec, vcc
	s_or_b64 s[48:49], vcc, s[48:49]
	s_andn2_b64 vcc, s[50:51], exec
	s_and_b64 s[50:51], s[52:53], exec
	s_or_b64 s[50:51], vcc, s[50:51]
	s_andn2_b64 exec, exec, s[48:49]
	s_cbranch_execz .LBB10_236
.LBB10_208:                             ;   Parent Loop BB10_59 Depth=1
                                        ; =>  This Inner Loop Header: Depth=2
	s_add_i32 s59, s59, 1
	s_cmpk_lg_i32 s59, 0x2710
	s_cselect_b64 s[54:55], -1, 0
	s_and_b64 vcc, exec, s[54:55]
                                        ; implicit-def: $sgpr56_sgpr57
	s_cbranch_vccnz .LBB10_210
; %bb.209:                              ;   in Loop: Header=BB10_208 Depth=2
	s_trap 2
	ds_read_b64 v[0:1], v0
	s_andn2_b64 s[54:55], s[54:55], exec
	s_mov_b32 s59, 0
	s_mov_b64 s[56:57], -1
	s_waitcnt lgkmcnt(0)
	flat_load_dword v0, v[0:1] glc
	s_waitcnt vmcnt(0) lgkmcnt(0)
	buffer_invl2
	buffer_wbinvl1_vol
	v_cmp_eq_u32_e32 vcc, 0, v0
	s_and_b64 vcc, vcc, exec
	s_or_b64 s[54:55], s[54:55], vcc
.LBB10_210:                             ;   in Loop: Header=BB10_208 Depth=2
	s_andn2_b64 s[52:53], s[52:53], exec
	s_and_b64 s[56:57], s[56:57], exec
	s_mov_b64 vcc, -1
	s_or_b64 s[52:53], s[52:53], s[56:57]
	s_and_saveexec_b64 s[56:57], s[54:55]
	s_cbranch_execz .LBB10_207
; %bb.211:                              ;   in Loop: Header=BB10_208 Depth=2
	s_sleep 1
	s_trap 2
	ds_read_b64 v[0:1], v0
	s_andn2_b64 s[52:53], s[52:53], exec
	s_waitcnt lgkmcnt(0)
	v_cmp_ge_u64_e32 vcc, v[0:1], v[40:41]
	s_orn2_b64 vcc, vcc, exec
	s_branch .LBB10_207
.LBB10_212:                             ;   in Loop: Header=BB10_59 Depth=1
	s_or_b64 exec, exec, s[46:47]
.LBB10_213:                             ;   in Loop: Header=BB10_59 Depth=1
	s_or_b64 exec, exec, s[44:45]
.LBB10_214:                             ;   in Loop: Header=BB10_59 Depth=1
	s_or_b64 exec, exec, s[42:43]
	s_and_saveexec_b64 s[42:43], s[12:13]
	s_cbranch_execz .LBB10_216
; %bb.215:                              ;   in Loop: Header=BB10_59 Depth=1
	v_and_b32_e32 v52, 0x7ffffff8, v8
	v_cmp_eq_u64_e32 vcc, s[36:37], v[52:53]
	v_cndmask_b32_e32 v9, v11, v62, vcc
	v_lshlrev_b32_e32 v12, 4, v9
	v_and_b32_e32 v8, 7, v8
	v_ashrrev_i32_e32 v13, 31, v12
	v_mad_u64_u32 v[8:9], vcc, v8, 24, v[6:7]
	flat_store_dwordx2 v[8:9], v[12:13] offset:8
	s_waitcnt vmcnt(0)
.LBB10_216:                             ;   in Loop: Header=BB10_59 Depth=1
	s_or_b64 exec, exec, s[42:43]
	v_pk_mov_b32 v[8:9], v[0:1], v[0:1] op_sel:[0,1]
.LBB10_217:                             ;   in Loop: Header=BB10_59 Depth=1
	s_or_b64 exec, exec, s[20:21]
	s_and_saveexec_b64 s[20:21], s[14:15]
	s_cbranch_execz .LBB10_250
; %bb.218:                              ;   in Loop: Header=BB10_59 Depth=1
	s_and_saveexec_b64 vcc, s[30:31]
	s_xor_b64 s[42:43], exec, vcc
	s_cbranch_execz .LBB10_247
; %bb.219:                              ;   in Loop: Header=BB10_59 Depth=1
	s_and_saveexec_b64 s[44:45], s[16:17]
	s_cbranch_execz .LBB10_246
; %bb.220:                              ;   in Loop: Header=BB10_59 Depth=1
	s_mov_b64 s[48:49], exec
	v_mbcnt_lo_u32_b32 v0, s48, 0
	v_mbcnt_hi_u32_b32 v0, s49, v0
	v_cmp_eq_u32_e32 vcc, 0, v0
	s_waitcnt vmcnt(0) lgkmcnt(0)
	buffer_wbinvl1_vol
	s_and_saveexec_b64 s[46:47], vcc
	s_cbranch_execz .LBB10_222
; %bb.221:                              ;   in Loop: Header=BB10_59 Depth=1
	s_bcnt1_i32_b64 vcc_lo, s[48:49]
	v_mov_b32_e32 v52, vcc_lo
	ds_add_u64 v0, v[52:53]
	s_trap 2
.LBB10_222:                             ;   in Loop: Header=BB10_59 Depth=1
	s_or_b64 exec, exec, s[46:47]
	s_trap 2
	ds_read_b64 v[0:1], v0
	v_accvgpr_read_b32 v12, a16
	v_add_co_u32_e32 v40, vcc, v40, v12
	v_accvgpr_read_b32 v11, a17
	v_addc_co_u32_e32 v41, vcc, v41, v11, vcc
	s_waitcnt lgkmcnt(0)
	v_cmp_lt_u64_e32 vcc, v[0:1], v[40:41]
	s_and_saveexec_b64 s[46:47], vcc
	s_cbranch_execz .LBB10_245
; %bb.223:                              ;   in Loop: Header=BB10_59 Depth=1
	s_mov_b32 s59, 0
	s_mov_b64 s[48:49], 0
                                        ; implicit-def: $sgpr50_sgpr51
                                        ; implicit-def: $sgpr52_sgpr53
	s_branch .LBB10_225
.LBB10_224:                             ;   in Loop: Header=BB10_225 Depth=2
	s_or_b64 exec, exec, s[56:57]
	s_and_b64 vcc, exec, vcc
	s_or_b64 s[48:49], vcc, s[48:49]
	s_andn2_b64 vcc, s[50:51], exec
	s_and_b64 s[50:51], s[52:53], exec
	s_or_b64 s[50:51], vcc, s[50:51]
	s_andn2_b64 exec, exec, s[48:49]
	s_cbranch_execz .LBB10_243
.LBB10_225:                             ;   Parent Loop BB10_59 Depth=1
                                        ; =>  This Inner Loop Header: Depth=2
	s_add_i32 s59, s59, 1
	s_cmpk_lg_i32 s59, 0x2710
	s_cselect_b64 s[54:55], -1, 0
	s_and_b64 vcc, exec, s[54:55]
                                        ; implicit-def: $sgpr56_sgpr57
	s_cbranch_vccnz .LBB10_227
; %bb.226:                              ;   in Loop: Header=BB10_225 Depth=2
	s_trap 2
	ds_read_b64 v[0:1], v0
	s_andn2_b64 s[54:55], s[54:55], exec
	s_mov_b32 s59, 0
	s_mov_b64 s[56:57], -1
	s_waitcnt lgkmcnt(0)
	flat_load_dword v0, v[0:1] glc
	s_waitcnt vmcnt(0) lgkmcnt(0)
	buffer_invl2
	buffer_wbinvl1_vol
	v_cmp_eq_u32_e32 vcc, 0, v0
	s_and_b64 vcc, vcc, exec
	s_or_b64 s[54:55], s[54:55], vcc
.LBB10_227:                             ;   in Loop: Header=BB10_225 Depth=2
	s_andn2_b64 s[52:53], s[52:53], exec
	s_and_b64 s[56:57], s[56:57], exec
	s_mov_b64 vcc, -1
	s_or_b64 s[52:53], s[52:53], s[56:57]
	s_and_saveexec_b64 s[56:57], s[54:55]
	s_cbranch_execz .LBB10_224
; %bb.228:                              ;   in Loop: Header=BB10_225 Depth=2
	s_sleep 1
	s_trap 2
	ds_read_b64 v[0:1], v0
	s_andn2_b64 s[52:53], s[52:53], exec
	s_waitcnt lgkmcnt(0)
	v_cmp_ge_u64_e32 vcc, v[0:1], v[40:41]
	s_orn2_b64 vcc, vcc, exec
	s_branch .LBB10_224
.LBB10_229:                             ;   in Loop: Header=BB10_59 Depth=1
	s_or_b64 exec, exec, s[48:49]
	s_and_saveexec_b64 vcc, s[50:51]
	s_xor_b64 vcc, exec, vcc
	s_cbranch_execz .LBB10_231
; %bb.230:                              ;   in Loop: Header=BB10_59 Depth=1
	v_mov_b32_e32 v1, 1
	ds_write_b32 v0, v1
	s_trap 2
.LBB10_231:                             ;   in Loop: Header=BB10_59 Depth=1
	s_or_b64 exec, exec, s[46:47]
	;;#ASMSTART
	s_wakeup
	;;#ASMEND
.LBB10_232:                             ;   in Loop: Header=BB10_59 Depth=1
	s_or_b64 exec, exec, s[44:45]
.LBB10_233:                             ;   in Loop: Header=BB10_59 Depth=1
	s_andn2_saveexec_b64 vcc, s[42:43]
	s_cbranch_execz .LBB10_235
; %bb.234:                              ;   in Loop: Header=BB10_59 Depth=1
	s_waitcnt vmcnt(0) lgkmcnt(0)
	buffer_wbinvl1_vol
	s_barrier
.LBB10_235:                             ;   in Loop: Header=BB10_59 Depth=1
	s_or_b64 exec, exec, vcc
	s_or_b64 exec, exec, s[20:21]
	s_and_saveexec_b64 s[20:21], s[18:19]
	s_cbranch_execnz .LBB10_99
	s_branch .LBB10_100
.LBB10_236:                             ;   in Loop: Header=BB10_59 Depth=1
	s_or_b64 exec, exec, s[48:49]
	s_and_saveexec_b64 vcc, s[50:51]
	s_xor_b64 vcc, exec, vcc
	s_cbranch_execz .LBB10_238
; %bb.237:                              ;   in Loop: Header=BB10_59 Depth=1
	v_mov_b32_e32 v0, 1
	ds_write_b32 v0, v0
	s_trap 2
.LBB10_238:                             ;   in Loop: Header=BB10_59 Depth=1
	s_or_b64 exec, exec, s[46:47]
	;;#ASMSTART
	s_wakeup
	;;#ASMEND
.LBB10_239:                             ;   in Loop: Header=BB10_59 Depth=1
	s_or_b64 exec, exec, s[44:45]
.LBB10_240:                             ;   in Loop: Header=BB10_59 Depth=1
	s_andn2_saveexec_b64 vcc, s[42:43]
	s_cbranch_execz .LBB10_242
; %bb.241:                              ;   in Loop: Header=BB10_59 Depth=1
	s_waitcnt vmcnt(0) lgkmcnt(0)
	buffer_wbinvl1_vol
	s_barrier
.LBB10_242:                             ;   in Loop: Header=BB10_59 Depth=1
	s_or_b64 exec, exec, vcc
	s_or_b64 exec, exec, s[20:21]
	s_and_saveexec_b64 s[20:21], s[18:19]
	s_cbranch_execnz .LBB10_108
	s_branch .LBB10_109
.LBB10_243:                             ;   in Loop: Header=BB10_59 Depth=1
	s_or_b64 exec, exec, s[48:49]
	s_and_saveexec_b64 vcc, s[50:51]
	s_xor_b64 vcc, exec, vcc
	s_cbranch_execz .LBB10_245
; %bb.244:                              ;   in Loop: Header=BB10_59 Depth=1
	v_mov_b32_e32 v0, 1
	ds_write_b32 v0, v0
	s_trap 2
.LBB10_245:                             ;   in Loop: Header=BB10_59 Depth=1
	s_or_b64 exec, exec, s[46:47]
	;;#ASMSTART
	s_wakeup
	;;#ASMEND
.LBB10_246:                             ;   in Loop: Header=BB10_59 Depth=1
	s_or_b64 exec, exec, s[44:45]
.LBB10_247:                             ;   in Loop: Header=BB10_59 Depth=1
	s_andn2_saveexec_b64 vcc, s[42:43]
	s_cbranch_execz .LBB10_249
; %bb.248:                              ;   in Loop: Header=BB10_59 Depth=1
	s_waitcnt vmcnt(0) lgkmcnt(0)
	buffer_wbinvl1_vol
	s_barrier
.LBB10_249:                             ;   in Loop: Header=BB10_59 Depth=1
	s_or_b64 exec, exec, vcc
.LBB10_250:                             ;   in Loop: Header=BB10_59 Depth=1
	s_or_b64 exec, exec, s[20:21]
	v_sub_u32_e32 v1, v10, v42
	v_cmp_lt_i32_e32 vcc, 0, v1
	v_mov_b32_e32 v0, v22
	s_and_saveexec_b64 s[42:43], vcc
	s_cbranch_execz .LBB10_276
; %bb.251:                              ;   in Loop: Header=BB10_59 Depth=1
	v_and_b32_e32 v0, 7, v32
	v_mul_lo_u32 v12, v0, v62
	v_ashrrev_i32_e32 v13, 31, v12
	v_mov_b32_e32 v11, v32
	v_add_co_u32_e64 v25, vcc, 0, 0
	v_addc_co_u32_e32 v11, vcc, 1, v11, vcc
	v_lshlrev_b64 v[12:13], 4, v[12:13]
	v_accvgpr_read_b32 v0, a21
	v_add_co_u32_e32 v14, vcc, v0, v12
	v_accvgpr_read_b32 v0, a22
	v_addc_co_u32_e32 v15, vcc, v0, v13, vcc
	s_mov_b64 s[44:45], 0
	v_pk_mov_b32 v[16:17], v[60:61], v[60:61] op_sel:[0,1]
	v_mov_b32_e32 v28, v3
	v_pk_mov_b32 v[20:21], v[56:57], v[56:57] op_sel:[0,1]
	v_mov_b32_e32 v0, v22
	s_branch .LBB10_253
.LBB10_252:                             ;   in Loop: Header=BB10_253 Depth=2
	v_add_co_u32_e32 v20, vcc, v20, v44
	v_addc_co_u32_e32 v21, vcc, v21, v45, vcc
	v_add_co_u32_e32 v16, vcc, v16, v44
	v_sub_u32_e32 v1, v1, v44
	v_addc_co_u32_e32 v17, vcc, v17, v45, vcc
	v_cmp_gt_i32_e32 vcc, 1, v1
	s_or_b64 s[44:45], vcc, s[44:45]
	v_add_co_u32_e32 v14, vcc, v14, v46
	v_add_u32_e32 v0, v0, v2
	v_add_u32_e32 v28, v28, v24
	v_addc_co_u32_e32 v15, vcc, v15, v47, vcc
	s_andn2_b64 exec, exec, s[44:45]
	s_cbranch_execz .LBB10_275
.LBB10_253:                             ;   Parent Loop BB10_59 Depth=1
                                        ; =>  This Inner Loop Header: Depth=2
	v_add_co_u32_e32 v18, vcc, v42, v20
	v_addc_co_u32_e32 v13, vcc, v43, v21, vcc
	v_and_b32_e32 v12, -4, v18
	global_load_dword v10, v[12:13], off glc slc
	v_min_u32_e32 v19, 8, v1
	v_and_b32_e32 v18, 3, v18
	v_add_co_u32_e32 v36, vcc, v18, v19
	v_addc_co_u32_e64 v37, s[20:21], 0, 0, vcc
	v_mov_b32_e32 v29, 0
	v_cmp_lt_u64_e32 vcc, 4, v[36:37]
	v_mov_b32_e32 v31, 0
	s_and_saveexec_b64 s[20:21], vcc
	s_cbranch_execz .LBB10_255
; %bb.254:                              ;   in Loop: Header=BB10_253 Depth=2
	global_load_dword v31, v[12:13], off offset:4 glc slc
.LBB10_255:                             ;   in Loop: Header=BB10_253 Depth=2
	s_or_b64 exec, exec, s[20:21]
	v_cmp_lt_u64_e32 vcc, 8, v[36:37]
	s_and_saveexec_b64 s[20:21], vcc
	s_cbranch_execz .LBB10_257
; %bb.256:                              ;   in Loop: Header=BB10_253 Depth=2
	global_load_dword v29, v[12:13], off offset:8 glc slc
.LBB10_257:                             ;   in Loop: Header=BB10_253 Depth=2
	s_or_b64 exec, exec, s[20:21]
	v_add_co_u32_e32 v36, vcc, v16, v42
	v_addc_co_u32_e32 v37, vcc, v17, v43, vcc
	s_waitcnt vmcnt(0)
	v_alignbit_b32 v54, v31, v10, v28
	v_alignbit_b32 v55, v29, v31, v28
	v_or_b32_e32 v10, v25, v54
	v_or_b32_e32 v12, v25, v55
	v_mov_b32_e32 v13, v11
	v_cmp_lt_u32_e32 vcc, 7, v1
	global_store_dwordx4 v[14:15], v[10:13], off
	s_nop 0
	v_cndmask_b32_e64 v10, 0, 1, vcc
	;;#ASMSTART
	;;#ASMEND
	v_cmp_ne_u32_e64 s[20:21], 0, v10
	s_cmp_lg_u64 s[20:21], exec
	s_mov_b64 s[20:21], -1
	s_cbranch_scc0 .LBB10_267
; %bb.258:                              ;   in Loop: Header=BB10_253 Depth=2
	v_cmp_ne_u32_e64 s[20:21], 1, v1
	flat_store_byte v[36:37], v54
	s_and_saveexec_b64 s[46:47], s[20:21]
	s_cbranch_execnz .LBB10_269
; %bb.259:                              ;   in Loop: Header=BB10_253 Depth=2
	s_or_b64 exec, exec, s[46:47]
	v_cmp_lt_u32_e64 s[20:21], 2, v1
	s_and_saveexec_b64 s[46:47], s[20:21]
	s_cbranch_execnz .LBB10_270
.LBB10_260:                             ;   in Loop: Header=BB10_253 Depth=2
	s_or_b64 exec, exec, s[46:47]
	v_cmp_lt_u32_e64 s[20:21], 3, v1
	s_and_saveexec_b64 s[46:47], s[20:21]
	s_cbranch_execnz .LBB10_271
.LBB10_261:                             ;   in Loop: Header=BB10_253 Depth=2
	s_or_b64 exec, exec, s[46:47]
	v_cmp_lt_u32_e64 s[20:21], 4, v1
	s_and_saveexec_b64 s[46:47], s[20:21]
	s_cbranch_execnz .LBB10_272
.LBB10_262:                             ;   in Loop: Header=BB10_253 Depth=2
	s_or_b64 exec, exec, s[46:47]
	v_cmp_lt_u32_e64 s[20:21], 5, v1
	s_and_saveexec_b64 s[46:47], s[20:21]
	s_cbranch_execnz .LBB10_273
.LBB10_263:                             ;   in Loop: Header=BB10_253 Depth=2
	s_or_b64 exec, exec, s[46:47]
	v_cmp_lt_u32_e64 s[20:21], 6, v1
	s_and_saveexec_b64 s[46:47], s[20:21]
	s_cbranch_execnz .LBB10_274
.LBB10_264:                             ;   in Loop: Header=BB10_253 Depth=2
	s_or_b64 exec, exec, s[46:47]
	s_and_saveexec_b64 s[20:21], vcc
	s_cbranch_execz .LBB10_266
.LBB10_265:                             ;   in Loop: Header=BB10_253 Depth=2
	v_lshrrev_b32_e32 v10, 24, v55
	flat_store_byte v[36:37], v10 offset:7
.LBB10_266:                             ;   in Loop: Header=BB10_253 Depth=2
	s_or_b64 exec, exec, s[20:21]
	s_mov_b64 s[20:21], 0
.LBB10_267:                             ;   in Loop: Header=BB10_253 Depth=2
	s_and_b64 vcc, exec, s[20:21]
	s_cbranch_vccz .LBB10_252
; %bb.268:                              ;   in Loop: Header=BB10_253 Depth=2
	global_store_dwordx2 v[36:37], v[54:55], off
	s_branch .LBB10_252
.LBB10_269:                             ;   in Loop: Header=BB10_253 Depth=2
	v_lshrrev_b32_e32 v10, 8, v54
	flat_store_byte v[36:37], v10 offset:1
	s_or_b64 exec, exec, s[46:47]
	v_cmp_lt_u32_e64 s[20:21], 2, v1
	s_and_saveexec_b64 s[46:47], s[20:21]
	s_cbranch_execz .LBB10_260
.LBB10_270:                             ;   in Loop: Header=BB10_253 Depth=2
	flat_store_byte_d16_hi v[36:37], v54 offset:2
	s_or_b64 exec, exec, s[46:47]
	v_cmp_lt_u32_e64 s[20:21], 3, v1
	s_and_saveexec_b64 s[46:47], s[20:21]
	s_cbranch_execz .LBB10_261
.LBB10_271:                             ;   in Loop: Header=BB10_253 Depth=2
	v_lshrrev_b32_e32 v10, 24, v54
	flat_store_byte v[36:37], v10 offset:3
	s_or_b64 exec, exec, s[46:47]
	v_cmp_lt_u32_e64 s[20:21], 4, v1
	s_and_saveexec_b64 s[46:47], s[20:21]
	s_cbranch_execz .LBB10_262
.LBB10_272:                             ;   in Loop: Header=BB10_253 Depth=2
	flat_store_byte v[36:37], v55 offset:4
	s_or_b64 exec, exec, s[46:47]
	v_cmp_lt_u32_e64 s[20:21], 5, v1
	s_and_saveexec_b64 s[46:47], s[20:21]
	s_cbranch_execz .LBB10_263
.LBB10_273:                             ;   in Loop: Header=BB10_253 Depth=2
	v_lshrrev_b32_e32 v10, 8, v55
	flat_store_byte v[36:37], v10 offset:5
	s_or_b64 exec, exec, s[46:47]
	v_cmp_lt_u32_e64 s[20:21], 6, v1
	s_and_saveexec_b64 s[46:47], s[20:21]
	s_cbranch_execz .LBB10_264
.LBB10_274:                             ;   in Loop: Header=BB10_253 Depth=2
	flat_store_byte_d16_hi v[36:37], v55 offset:6
	s_or_b64 exec, exec, s[46:47]
	s_and_saveexec_b64 s[20:21], vcc
	s_cbranch_execnz .LBB10_265
	s_branch .LBB10_266
.LBB10_275:                             ;   in Loop: Header=BB10_59 Depth=1
	s_or_b64 exec, exec, s[44:45]
	v_accvgpr_read_b32 v19, a15
	v_accvgpr_read_b32 v18, a14
	;; [unrolled: 1-line block ×3, first 2 shown]
.LBB10_276:                             ;   in Loop: Header=BB10_59 Depth=1
	s_or_b64 exec, exec, s[42:43]
	v_and_b32_e32 v52, 0x7ffffff8, v32
	v_cmp_eq_u64_e32 vcc, s[36:37], v[52:53]
	v_cmp_gt_i32_e64 s[20:21], v62, v0
	s_and_b64 s[20:21], vcc, s[20:21]
	s_and_saveexec_b64 s[42:43], s[20:21]
	s_cbranch_execz .LBB10_279
; %bb.277:                              ;   in Loop: Header=BB10_59 Depth=1
	v_and_b32_e32 v1, 7, v32
	v_mul_lo_u32 v12, v1, v62
	v_mov_b32_e32 v1, v32
	v_add_co_u32_e64 v10, vcc, 0, 0
	v_ashrrev_i32_e32 v13, 31, v12
	v_addc_co_u32_e32 v11, vcc, 1, v1, vcc
	v_ashrrev_i32_e32 v1, 31, v0
	v_lshlrev_b64 v[14:15], 4, v[0:1]
	v_lshlrev_b64 v[12:13], 4, v[12:13]
	v_add_co_u32_e32 v1, vcc, v14, v12
	v_addc_co_u32_e32 v12, vcc, v15, v13, vcc
	v_accvgpr_read_b32 v15, a11
	v_accvgpr_read_b32 v14, a10
	v_add_co_u32_e32 v14, vcc, v14, v1
	v_addc_co_u32_e32 v15, vcc, v15, v12, vcc
	s_mov_b64 s[44:45], 0
.LBB10_278:                             ;   Parent Loop BB10_59 Depth=1
                                        ; =>  This Inner Loop Header: Depth=2
	v_mov_b32_e32 v12, v10
	v_mov_b32_e32 v13, v11
	v_add_u32_e32 v0, v0, v2
	global_store_dwordx4 v[14:15], v[10:13], off
	v_cmp_ge_i32_e32 vcc, v0, v62
	v_add_co_u32_e64 v14, s[20:21], v14, v46
	s_or_b64 s[44:45], vcc, s[44:45]
	v_addc_co_u32_e64 v15, vcc, v15, v47, s[20:21]
	s_andn2_b64 exec, exec, s[44:45]
	s_cbranch_execnz .LBB10_278
.LBB10_279:                             ;   in Loop: Header=BB10_59 Depth=1
	s_or_b64 exec, exec, s[42:43]
	v_add_co_u32_e32 v32, vcc, 1, v32
	v_addc_co_u32_e32 v33, vcc, 0, v33, vcc
                                        ; implicit-def: $vgpr11
                                        ; implicit-def: $vgpr10
.LBB10_280:                             ;   in Loop: Header=BB10_59 Depth=1
	s_andn2_saveexec_b64 s[40:41], s[40:41]
	s_cbranch_execz .LBB10_57
; %bb.281:                              ;   in Loop: Header=BB10_59 Depth=1
	s_and_saveexec_b64 s[20:21], s[10:11]
	s_cbranch_execz .LBB10_297
; %bb.282:                              ;   in Loop: Header=BB10_59 Depth=1
	v_add_co_u32_e32 v0, vcc, 1, v8
	v_addc_co_u32_e32 v1, vcc, 0, v9, vcc
	s_waitcnt vmcnt(0) lgkmcnt(0)
	v_add_co_u32_e32 v12, vcc, 8, v48
	v_addc_co_u32_e32 v13, vcc, 0, v49, vcc
	v_cmp_lt_u64_e32 vcc, v[12:13], v[0:1]
	s_and_saveexec_b64 s[42:43], vcc
	s_cbranch_execz .LBB10_294
; %bb.283:                              ;   in Loop: Header=BB10_59 Depth=1
	s_sleep 1
	flat_load_dwordx2 v[48:49], v[38:39] glc
	v_cmp_eq_u32_e32 vcc, 0, v23
	s_and_saveexec_b64 s[44:45], vcc
	s_cbranch_execz .LBB10_293
; %bb.284:                              ;   in Loop: Header=BB10_59 Depth=1
	v_cndmask_b32_e64 v9, 0, 1, vcc
	s_mov_b64 s[46:47], 0
                                        ; implicit-def: $sgpr48_sgpr49
	s_branch .LBB10_288
.LBB10_285:                             ;   in Loop: Header=BB10_288 Depth=2
	s_or_b64 exec, exec, s[56:57]
	s_orn2_b64 s[54:55], s[54:55], exec
.LBB10_286:                             ;   in Loop: Header=BB10_288 Depth=2
	s_or_b64 exec, exec, s[52:53]
	s_xor_b64 vcc, s[54:55], -1
	s_andn2_b64 s[48:49], s[48:49], exec
	s_and_b64 vcc, vcc, exec
	s_or_b64 s[48:49], s[48:49], vcc
.LBB10_287:                             ;   in Loop: Header=BB10_288 Depth=2
	s_or_b64 exec, exec, s[50:51]
	s_and_b64 vcc, exec, s[48:49]
	s_or_b64 s[46:47], vcc, s[46:47]
	s_andn2_b64 exec, exec, s[46:47]
	s_cbranch_execz .LBB10_292
.LBB10_288:                             ;   Parent Loop BB10_59 Depth=1
                                        ; =>  This Inner Loop Header: Depth=2
	s_waitcnt vmcnt(0) lgkmcnt(0)
	v_add_co_u32_e32 v12, vcc, 8, v48
	v_addc_co_u32_e32 v13, vcc, 0, v49, vcc
	v_cmp_lt_u64_e32 vcc, v[12:13], v[0:1]
	v_mov_b32_e32 v23, 0
	s_or_b64 s[48:49], s[48:49], exec
	s_and_saveexec_b64 s[50:51], vcc
	s_cbranch_execz .LBB10_287
; %bb.289:                              ;   in Loop: Header=BB10_288 Depth=2
	s_sleep 1
	flat_load_dwordx2 v[48:49], v[38:39] glc
	v_add_u32_e32 v9, 1, v9
	v_cmp_eq_u32_e32 vcc, s58, v9
	s_mov_b64 s[54:55], -1
	v_mov_b32_e32 v23, 0
	s_and_saveexec_b64 s[52:53], vcc
	s_cbranch_execz .LBB10_286
; %bb.290:                              ;   in Loop: Header=BB10_288 Depth=2
	s_trap 2
	ds_read_b64 v[12:13], v0
	v_mov_b32_e32 v9, 0
	v_mov_b32_e32 v23, 0
	s_waitcnt vmcnt(0) lgkmcnt(0)
	flat_load_dword v12, v[12:13] glc
	s_waitcnt vmcnt(0) lgkmcnt(0)
	buffer_invl2
	buffer_wbinvl1_vol
	v_cmp_ne_u32_e32 vcc, 0, v12
	s_and_saveexec_b64 s[56:57], vcc
	s_cbranch_execz .LBB10_285
; %bb.291:                              ;   in Loop: Header=BB10_288 Depth=2
	v_mov_b32_e32 v23, 1
	s_xor_b64 s[54:55], exec, -1
	ds_write_b32 v0, v12
	s_trap 2
	s_branch .LBB10_285
.LBB10_292:                             ;   in Loop: Header=BB10_59 Depth=1
	s_or_b64 exec, exec, s[46:47]
.LBB10_293:                             ;   in Loop: Header=BB10_59 Depth=1
	s_or_b64 exec, exec, s[44:45]
.LBB10_294:                             ;   in Loop: Header=BB10_59 Depth=1
	s_or_b64 exec, exec, s[42:43]
	s_and_saveexec_b64 s[42:43], s[12:13]
	s_cbranch_execz .LBB10_296
; %bb.295:                              ;   in Loop: Header=BB10_59 Depth=1
	v_and_b32_e32 v52, 0x7ffffff8, v8
	v_cmp_eq_u64_e32 vcc, s[36:37], v[52:53]
	v_cndmask_b32_e32 v9, v11, v62, vcc
	v_lshlrev_b32_e32 v12, 4, v9
	v_and_b32_e32 v8, 7, v8
	v_ashrrev_i32_e32 v13, 31, v12
	v_mad_u64_u32 v[8:9], vcc, v8, 24, v[6:7]
	flat_store_dwordx2 v[8:9], v[12:13] offset:8
	s_waitcnt vmcnt(0)
.LBB10_296:                             ;   in Loop: Header=BB10_59 Depth=1
	s_or_b64 exec, exec, s[42:43]
	v_pk_mov_b32 v[8:9], v[0:1], v[0:1] op_sel:[0,1]
.LBB10_297:                             ;   in Loop: Header=BB10_59 Depth=1
	s_or_b64 exec, exec, s[20:21]
	s_and_saveexec_b64 s[20:21], s[14:15]
	s_cbranch_execz .LBB10_316
; %bb.298:                              ;   in Loop: Header=BB10_59 Depth=1
	s_and_saveexec_b64 vcc, s[30:31]
	s_xor_b64 s[42:43], exec, vcc
	s_cbranch_execz .LBB10_313
; %bb.299:                              ;   in Loop: Header=BB10_59 Depth=1
	s_and_saveexec_b64 s[44:45], s[16:17]
	s_cbranch_execz .LBB10_312
; %bb.300:                              ;   in Loop: Header=BB10_59 Depth=1
	s_mov_b64 s[48:49], exec
	v_mbcnt_lo_u32_b32 v0, s48, 0
	v_mbcnt_hi_u32_b32 v0, s49, v0
	v_cmp_eq_u32_e32 vcc, 0, v0
	s_waitcnt vmcnt(0) lgkmcnt(0)
	buffer_wbinvl1_vol
	s_and_saveexec_b64 s[46:47], vcc
	s_cbranch_execz .LBB10_302
; %bb.301:                              ;   in Loop: Header=BB10_59 Depth=1
	s_bcnt1_i32_b64 vcc_lo, s[48:49]
	v_mov_b32_e32 v52, vcc_lo
	ds_add_u64 v0, v[52:53]
	s_trap 2
.LBB10_302:                             ;   in Loop: Header=BB10_59 Depth=1
	s_or_b64 exec, exec, s[46:47]
	s_trap 2
	ds_read_b64 v[0:1], v0
	v_accvgpr_read_b32 v12, a16
	v_add_co_u32_e32 v40, vcc, v40, v12
	v_accvgpr_read_b32 v11, a17
	v_addc_co_u32_e32 v41, vcc, v41, v11, vcc
	s_waitcnt lgkmcnt(0)
	v_cmp_lt_u64_e32 vcc, v[0:1], v[40:41]
	s_and_saveexec_b64 s[46:47], vcc
	s_cbranch_execz .LBB10_311
; %bb.303:                              ;   in Loop: Header=BB10_59 Depth=1
	s_mov_b32 s59, 0
	s_mov_b64 s[48:49], 0
                                        ; implicit-def: $sgpr50_sgpr51
                                        ; implicit-def: $sgpr52_sgpr53
	s_branch .LBB10_305
.LBB10_304:                             ;   in Loop: Header=BB10_305 Depth=2
	s_or_b64 exec, exec, s[56:57]
	s_and_b64 vcc, exec, vcc
	s_or_b64 s[48:49], vcc, s[48:49]
	s_andn2_b64 vcc, s[50:51], exec
	s_and_b64 s[50:51], s[52:53], exec
	s_or_b64 s[50:51], vcc, s[50:51]
	s_andn2_b64 exec, exec, s[48:49]
	s_cbranch_execz .LBB10_309
.LBB10_305:                             ;   Parent Loop BB10_59 Depth=1
                                        ; =>  This Inner Loop Header: Depth=2
	s_add_i32 s59, s59, 1
	s_cmpk_lg_i32 s59, 0x2710
	s_cselect_b64 s[54:55], -1, 0
	s_and_b64 vcc, exec, s[54:55]
                                        ; implicit-def: $sgpr56_sgpr57
	s_cbranch_vccnz .LBB10_307
; %bb.306:                              ;   in Loop: Header=BB10_305 Depth=2
	s_trap 2
	ds_read_b64 v[0:1], v0
	s_andn2_b64 s[54:55], s[54:55], exec
	s_mov_b32 s59, 0
	s_mov_b64 s[56:57], -1
	s_waitcnt lgkmcnt(0)
	flat_load_dword v0, v[0:1] glc
	s_waitcnt vmcnt(0) lgkmcnt(0)
	buffer_invl2
	buffer_wbinvl1_vol
	v_cmp_eq_u32_e32 vcc, 0, v0
	s_and_b64 vcc, vcc, exec
	s_or_b64 s[54:55], s[54:55], vcc
.LBB10_307:                             ;   in Loop: Header=BB10_305 Depth=2
	s_andn2_b64 s[52:53], s[52:53], exec
	s_and_b64 s[56:57], s[56:57], exec
	s_mov_b64 vcc, -1
	s_or_b64 s[52:53], s[52:53], s[56:57]
	s_and_saveexec_b64 s[56:57], s[54:55]
	s_cbranch_execz .LBB10_304
; %bb.308:                              ;   in Loop: Header=BB10_305 Depth=2
	s_sleep 1
	s_trap 2
	ds_read_b64 v[0:1], v0
	s_andn2_b64 s[52:53], s[52:53], exec
	s_waitcnt lgkmcnt(0)
	v_cmp_ge_u64_e32 vcc, v[0:1], v[40:41]
	s_orn2_b64 vcc, vcc, exec
	s_branch .LBB10_304
.LBB10_309:                             ;   in Loop: Header=BB10_59 Depth=1
	s_or_b64 exec, exec, s[48:49]
	s_and_saveexec_b64 vcc, s[50:51]
	s_xor_b64 vcc, exec, vcc
	s_cbranch_execz .LBB10_311
; %bb.310:                              ;   in Loop: Header=BB10_59 Depth=1
	v_mov_b32_e32 v0, 1
	ds_write_b32 v0, v0
	s_trap 2
.LBB10_311:                             ;   in Loop: Header=BB10_59 Depth=1
	s_or_b64 exec, exec, s[46:47]
	;;#ASMSTART
	s_wakeup
	;;#ASMEND
.LBB10_312:                             ;   in Loop: Header=BB10_59 Depth=1
	s_or_b64 exec, exec, s[44:45]
.LBB10_313:                             ;   in Loop: Header=BB10_59 Depth=1
	s_andn2_saveexec_b64 vcc, s[42:43]
	s_cbranch_execz .LBB10_315
; %bb.314:                              ;   in Loop: Header=BB10_59 Depth=1
	s_waitcnt vmcnt(0) lgkmcnt(0)
	buffer_wbinvl1_vol
	s_barrier
.LBB10_315:                             ;   in Loop: Header=BB10_59 Depth=1
	s_or_b64 exec, exec, vcc
.LBB10_316:                             ;   in Loop: Header=BB10_59 Depth=1
	s_or_b64 exec, exec, s[20:21]
	v_sub_u32_e32 v25, v10, v42
	v_cmp_lt_i32_e32 vcc, 0, v25
	v_and_b32_e32 v1, 7, v32
	v_mov_b32_e32 v0, v22
	s_and_saveexec_b64 s[20:21], vcc
	s_cbranch_execz .LBB10_324
; %bb.317:                              ;   in Loop: Header=BB10_59 Depth=1
	v_mul_lo_u32 v12, v1, v62
	v_ashrrev_i32_e32 v13, 31, v12
	v_mov_b32_e32 v11, v32
	v_add_co_u32_e64 v28, vcc, 0, 0
	v_addc_co_u32_e32 v11, vcc, 1, v11, vcc
	v_lshlrev_b64 v[12:13], 4, v[12:13]
	v_accvgpr_read_b32 v0, a21
	v_add_co_u32_e32 v14, vcc, v0, v12
	v_accvgpr_read_b32 v0, a22
	v_addc_co_u32_e32 v15, vcc, v0, v13, vcc
	s_mov_b64 s[42:43], 0
	v_mov_b32_e32 v29, v3
	v_pk_mov_b32 v[16:17], v[58:59], v[58:59] op_sel:[0,1]
	v_mov_b32_e32 v0, v22
	s_branch .LBB10_319
.LBB10_318:                             ;   in Loop: Header=BB10_319 Depth=2
	s_or_b64 exec, exec, s[44:45]
	v_add_co_u32_e32 v16, vcc, v16, v44
	s_waitcnt vmcnt(0)
	v_alignbit_b32 v10, v36, v10, v29
	v_alignbit_b32 v12, v31, v36, v29
	v_sub_u32_e32 v25, v25, v44
	v_addc_co_u32_e32 v17, vcc, v17, v45, vcc
	v_or_b32_e32 v10, v28, v10
	v_or_b32_e32 v12, v28, v12
	v_mov_b32_e32 v13, v11
	v_cmp_gt_i32_e32 vcc, 1, v25
	global_store_dwordx4 v[14:15], v[10:13], off
	s_or_b64 s[42:43], vcc, s[42:43]
	v_add_co_u32_e32 v14, vcc, v14, v46
	v_add_u32_e32 v0, v0, v2
	v_add_u32_e32 v29, v29, v24
	v_addc_co_u32_e32 v15, vcc, v15, v47, vcc
	s_andn2_b64 exec, exec, s[42:43]
	s_cbranch_execz .LBB10_323
.LBB10_319:                             ;   Parent Loop BB10_59 Depth=1
                                        ; =>  This Inner Loop Header: Depth=2
	v_and_b32_e32 v12, -4, v16
	v_mov_b32_e32 v13, v17
	global_load_dword v10, v[12:13], off glc slc
	v_min_u32_e32 v18, 8, v25
	v_and_b32_e32 v19, 3, v16
	v_add_co_u32_e32 v20, vcc, v19, v18
	v_addc_co_u32_e64 v21, vcc, 0, 0, vcc
	v_mov_b32_e32 v31, 0
	v_cmp_lt_u64_e32 vcc, 4, v[20:21]
	v_mov_b32_e32 v36, 0
	s_and_saveexec_b64 s[44:45], vcc
	s_cbranch_execz .LBB10_321
; %bb.320:                              ;   in Loop: Header=BB10_319 Depth=2
	global_load_dword v36, v[12:13], off offset:4 glc slc
.LBB10_321:                             ;   in Loop: Header=BB10_319 Depth=2
	s_or_b64 exec, exec, s[44:45]
	v_cmp_lt_u64_e32 vcc, 8, v[20:21]
	s_and_saveexec_b64 s[44:45], vcc
	s_cbranch_execz .LBB10_318
; %bb.322:                              ;   in Loop: Header=BB10_319 Depth=2
	global_load_dword v31, v[12:13], off offset:8 glc slc
	s_branch .LBB10_318
.LBB10_323:                             ;   in Loop: Header=BB10_59 Depth=1
	s_or_b64 exec, exec, s[42:43]
	v_accvgpr_read_b32 v19, a15
	v_accvgpr_read_b32 v18, a14
	;; [unrolled: 1-line block ×3, first 2 shown]
.LBB10_324:                             ;   in Loop: Header=BB10_59 Depth=1
	s_or_b64 exec, exec, s[20:21]
	v_and_b32_e32 v52, 0x7ffffff8, v32
	v_cmp_eq_u64_e32 vcc, s[36:37], v[52:53]
	v_cmp_gt_i32_e64 s[20:21], v62, v0
	s_and_b64 s[20:21], vcc, s[20:21]
	s_and_saveexec_b64 s[42:43], s[20:21]
	s_cbranch_execz .LBB10_56
; %bb.325:                              ;   in Loop: Header=BB10_59 Depth=1
	v_mul_lo_u32 v12, v1, v62
	v_mov_b32_e32 v1, v32
	v_add_co_u32_e64 v10, vcc, 0, 0
	v_ashrrev_i32_e32 v13, 31, v12
	v_addc_co_u32_e32 v11, vcc, 1, v1, vcc
	v_ashrrev_i32_e32 v1, 31, v0
	v_lshlrev_b64 v[14:15], 4, v[0:1]
	v_lshlrev_b64 v[12:13], 4, v[12:13]
	v_add_co_u32_e32 v1, vcc, v14, v12
	v_addc_co_u32_e32 v12, vcc, v15, v13, vcc
	v_accvgpr_read_b32 v15, a11
	v_accvgpr_read_b32 v14, a10
	v_add_co_u32_e32 v14, vcc, v14, v1
	v_addc_co_u32_e32 v15, vcc, v15, v12, vcc
	s_mov_b64 s[44:45], 0
.LBB10_326:                             ;   Parent Loop BB10_59 Depth=1
                                        ; =>  This Inner Loop Header: Depth=2
	v_mov_b32_e32 v12, v10
	v_mov_b32_e32 v13, v11
	v_add_u32_e32 v0, v0, v2
	global_store_dwordx4 v[14:15], v[10:13], off
	v_cmp_ge_i32_e32 vcc, v0, v62
	v_add_co_u32_e64 v14, s[20:21], v14, v46
	s_or_b64 s[44:45], vcc, s[44:45]
	v_addc_co_u32_e64 v15, vcc, v15, v47, s[20:21]
	s_andn2_b64 exec, exec, s[44:45]
	s_cbranch_execnz .LBB10_326
	s_branch .LBB10_56
.LBB10_327:
	s_or_b64 exec, exec, s[28:29]
	v_accvgpr_read_b32 v19, a5
	v_accvgpr_read_b32 v25, a7
	;; [unrolled: 1-line block ×6, first 2 shown]
	s_or_b64 exec, exec, s[26:27]
	s_and_saveexec_b64 s[6:7], s[24:25]
	s_cbranch_execz .LBB10_53
.LBB10_328:
	s_waitcnt lgkmcnt(0)
	flat_store_dwordx2 v[24:25], v[34:35] offset:104
	s_or_b64 exec, exec, s[6:7]
	s_and_saveexec_b64 s[6:7], s[4:5]
	s_cbranch_execz .LBB10_54
.LBB10_329:
	s_waitcnt lgkmcnt(0)
	flat_store_dwordx2 v[18:19], v[8:9] offset:104
	s_or_b64 exec, exec, s[6:7]
	v_cmp_ne_u32_e32 vcc, 64, v2
	s_and_saveexec_b64 s[4:5], vcc
	s_cbranch_execz .LBB10_347
.LBB10_330:
	v_cmp_ne_u32_sdwa s[6:7], v2, v17 src0_sel:DWORD src1_sel:WORD_0
	s_and_saveexec_b64 s[8:9], s[6:7]
	s_xor_b64 s[6:7], exec, s[8:9]
	s_cbranch_execz .LBB10_345
; %bb.331:
	v_and_b32_e32 v0, 63, v31
	v_cmp_eq_u32_e32 vcc, 0, v0
	s_and_saveexec_b64 s[8:9], vcc
	s_cbranch_execz .LBB10_344
; %bb.332:
	s_mov_b64 s[12:13], exec
	v_mbcnt_lo_u32_b32 v0, s12, 0
	v_mbcnt_hi_u32_b32 v0, s13, v0
	v_cmp_eq_u32_e32 vcc, 0, v0
	s_waitcnt vmcnt(0) lgkmcnt(0)
	buffer_wbinvl1_vol
	s_and_saveexec_b64 s[10:11], vcc
	s_cbranch_execz .LBB10_334
; %bb.333:
	s_bcnt1_i32_b64 s12, s[12:13]
	v_mov_b32_e32 v0, s12
	v_mov_b32_e32 v1, 0
	ds_add_u64 v0, v[0:1]
	s_trap 2
.LBB10_334:
	s_or_b64 exec, exec, s[10:11]
	v_ashrrev_i32_e32 v0, 31, v2
	v_lshrrev_b32_e32 v0, 26, v0
	v_add_u32_e32 v0, v2, v0
	v_ashrrev_i32_e32 v0, 6, v0
	s_trap 2
	ds_read_b64 v[2:3], v0
	v_ashrrev_i32_e32 v1, 31, v0
	v_add_co_u32_e32 v0, vcc, v40, v0
	v_addc_co_u32_e32 v1, vcc, v41, v1, vcc
	s_waitcnt lgkmcnt(0)
	v_cmp_lt_u64_e32 vcc, v[2:3], v[0:1]
	s_and_saveexec_b64 s[10:11], vcc
	s_cbranch_execz .LBB10_343
; %bb.335:
	s_mov_b32 s26, 0
	s_mov_b64 s[12:13], 0
                                        ; implicit-def: $sgpr14_sgpr15
                                        ; implicit-def: $sgpr16_sgpr17
	s_branch .LBB10_337
.LBB10_336:                             ;   in Loop: Header=BB10_337 Depth=1
	s_or_b64 exec, exec, s[24:25]
	s_and_b64 s[18:19], exec, s[20:21]
	s_or_b64 s[12:13], s[18:19], s[12:13]
	s_andn2_b64 s[14:15], s[14:15], exec
	s_and_b64 s[18:19], s[16:17], exec
	s_or_b64 s[14:15], s[14:15], s[18:19]
	s_andn2_b64 exec, exec, s[12:13]
	s_cbranch_execz .LBB10_341
.LBB10_337:                             ; =>This Inner Loop Header: Depth=1
	s_add_i32 s26, s26, 1
	s_cmpk_lg_i32 s26, 0x2710
	s_cselect_b64 s[18:19], -1, 0
	s_and_b64 vcc, exec, s[18:19]
                                        ; implicit-def: $sgpr24_sgpr25
	s_cbranch_vccnz .LBB10_339
; %bb.338:                              ;   in Loop: Header=BB10_337 Depth=1
	s_trap 2
	ds_read_b64 v[2:3], v0
	s_andn2_b64 s[18:19], s[18:19], exec
	s_mov_b32 s26, 0
	s_mov_b64 s[24:25], -1
	s_waitcnt lgkmcnt(0)
	flat_load_dword v2, v[2:3] glc
	s_waitcnt vmcnt(0) lgkmcnt(0)
	buffer_invl2
	buffer_wbinvl1_vol
	v_cmp_eq_u32_e32 vcc, 0, v2
	s_and_b64 s[20:21], vcc, exec
	s_or_b64 s[18:19], s[18:19], s[20:21]
.LBB10_339:                             ;   in Loop: Header=BB10_337 Depth=1
	s_andn2_b64 s[16:17], s[16:17], exec
	s_and_b64 s[24:25], s[24:25], exec
	s_mov_b64 s[20:21], -1
	s_or_b64 s[16:17], s[16:17], s[24:25]
	s_and_saveexec_b64 s[24:25], s[18:19]
	s_cbranch_execz .LBB10_336
; %bb.340:                              ;   in Loop: Header=BB10_337 Depth=1
	s_sleep 1
	s_trap 2
	ds_read_b64 v[2:3], v0
	s_andn2_b64 s[16:17], s[16:17], exec
	s_waitcnt lgkmcnt(0)
	v_cmp_ge_u64_e32 vcc, v[2:3], v[0:1]
	s_orn2_b64 s[20:21], vcc, exec
	s_branch .LBB10_336
.LBB10_341:
	s_or_b64 exec, exec, s[12:13]
	s_and_saveexec_b64 s[12:13], s[14:15]
	s_xor_b64 s[12:13], exec, s[12:13]
	s_cbranch_execz .LBB10_343
; %bb.342:
	v_mov_b32_e32 v0, 1
	ds_write_b32 v0, v0
	s_trap 2
.LBB10_343:
	s_or_b64 exec, exec, s[10:11]
	;;#ASMSTART
	s_wakeup
	;;#ASMEND
.LBB10_344:
	s_or_b64 exec, exec, s[8:9]
.LBB10_345:
	s_andn2_saveexec_b64 s[6:7], s[6:7]
	s_cbranch_execz .LBB10_347
; %bb.346:
	s_waitcnt vmcnt(0) lgkmcnt(0)
	buffer_wbinvl1_vol
	s_barrier
.LBB10_347:
	s_or_b64 exec, exec, s[4:5]
.LBB10_348:
	s_or_b64 exec, exec, s[22:23]
	buffer_load_dword v62, off, s[0:3], s32 ; 4-byte Folded Reload
	buffer_load_dword v61, off, s[0:3], s32 offset:4 ; 4-byte Folded Reload
	buffer_load_dword v60, off, s[0:3], s32 offset:8 ; 4-byte Folded Reload
	buffer_load_dword v59, off, s[0:3], s32 offset:12 ; 4-byte Folded Reload
	buffer_load_dword v58, off, s[0:3], s32 offset:16 ; 4-byte Folded Reload
	buffer_load_dword v57, off, s[0:3], s32 offset:20 ; 4-byte Folded Reload
	v_readlane_b32 s30, v63, 26
	v_readlane_b32 s31, v63, 27
	v_readlane_b32 s59, v63, 25
	v_readlane_b32 s58, v63, 24
	v_readlane_b32 s57, v63, 23
	v_readlane_b32 s56, v63, 22
	v_readlane_b32 s55, v63, 21
	v_readlane_b32 s54, v63, 20
	v_readlane_b32 s53, v63, 19
	v_readlane_b32 s52, v63, 18
	v_readlane_b32 s51, v63, 17
	v_readlane_b32 s50, v63, 16
	v_readlane_b32 s49, v63, 15
	v_readlane_b32 s48, v63, 14
	v_readlane_b32 s47, v63, 13
	v_readlane_b32 s46, v63, 12
	v_readlane_b32 s45, v63, 11
	v_readlane_b32 s44, v63, 10
	v_readlane_b32 s43, v63, 9
	v_readlane_b32 s42, v63, 8
	v_readlane_b32 s41, v63, 7
	v_readlane_b32 s40, v63, 6
	v_readlane_b32 s39, v63, 5
	v_readlane_b32 s38, v63, 4
	v_readlane_b32 s37, v63, 3
	v_readlane_b32 s36, v63, 2
	v_readlane_b32 s35, v63, 1
	v_readlane_b32 s34, v63, 0
	v_accvgpr_read_b32 v56, a31             ;  Reload Reuse
	v_accvgpr_read_b32 v47, a30             ;  Reload Reuse
	;; [unrolled: 1-line block ×9, first 2 shown]
	s_or_saveexec_b64 s[4:5], -1
	buffer_load_dword v63, off, s[0:3], s32 offset:24 ; 4-byte Folded Reload
	s_mov_b64 exec, s[4:5]
	s_waitcnt vmcnt(0) lgkmcnt(0)
	s_setpc_b64 s[30:31]
.Lfunc_end10:
	.size	_ZN12_GLOBAL__N_17runRingIa7FuncSumIaE7ProtoLLLi0ELi4ELi0EEEviiP15ncclDevWorkColl, .Lfunc_end10-_ZN12_GLOBAL__N_17runRingIa7FuncSumIaE7ProtoLLLi0ELi4ELi0EEEviiP15ncclDevWorkColl
                                        ; -- End function
	.section	.AMDGPU.csdata,"",@progbits
; Function info:
; codeLenInByte = 11680
; NumSgprs: 64
; NumVgprs: 64
; NumAgprs: 32
; TotalNumVgprs: 96
; ScratchSize: 32
; MemoryBound: 1
	.text
	.p2align	2                               ; -- Begin function _Z42ncclDevFunc_Broadcast_RING_LL_Sum_i8_0_0_4v
	.type	_Z42ncclDevFunc_Broadcast_RING_LL_Sum_i8_0_0_4v,@function
_Z42ncclDevFunc_Broadcast_RING_LL_Sum_i8_0_0_4v: ; @_Z42ncclDevFunc_Broadcast_RING_LL_Sum_i8_0_0_4v
; %bb.0:
	s_waitcnt vmcnt(0) expcnt(0) lgkmcnt(0)
	s_mov_b32 s4, s33
	s_mov_b32 s33, s32
	s_or_saveexec_b64 s[6:7], -1
	buffer_store_dword v43, off, s[0:3], s33 offset:16 ; 4-byte Folded Spill
	s_mov_b64 exec, s[6:7]
	v_writelane_b32 v43, s4, 36
	s_addk_i32 s32, 0x800
	buffer_store_dword v40, off, s[0:3], s33 offset:12 ; 4-byte Folded Spill
	buffer_store_dword v41, off, s[0:3], s33 offset:8 ; 4-byte Folded Spill
	;; [unrolled: 1-line block ×3, first 2 shown]
	buffer_store_dword v63, off, s[0:3], s33 ; 4-byte Folded Spill
	v_writelane_b32 v43, s34, 0
	v_writelane_b32 v43, s35, 1
	;; [unrolled: 1-line block ×36, first 2 shown]
	s_trap 2
	ds_read_b32 v0, v0
	v_mov_b32_e32 v40, v31
	s_mov_b32 s62, s12
	s_mov_b64 s[60:61], s[8:9]
	s_waitcnt lgkmcnt(0)
	v_cmp_gt_i32_e32 vcc, 1, v0
	s_cbranch_vccnz .LBB11_8
; %bb.1:
	s_mov_b32 s63, 0
	v_and_b32_e32 v41, 0x3ff, v40
	s_mov_b64 s[64:65], src_shared_base
	v_mov_b32_e32 v42, 6
	s_branch .LBB11_3
.LBB11_2:                               ;   in Loop: Header=BB11_3 Depth=1
	s_or_b64 exec, exec, s[66:67]
	s_trap 2
	ds_read_b32 v0, v0
	s_add_i32 s63, s63, 1
	s_waitcnt lgkmcnt(0)
	v_cmp_lt_i32_e32 vcc, s63, v0
	s_cbranch_vccz .LBB11_8
.LBB11_3:                               ; =>This Inner Loop Header: Depth=1
	s_trap 2
	ds_read_b32 v0, v0
	s_cmp_eq_u32 s63, 0
	s_cbranch_scc1 .LBB11_6
; %bb.4:                                ;   in Loop: Header=BB11_3 Depth=1
	s_trap 2
	s_waitcnt lgkmcnt(0)
	ds_read_b32 v1, v0
	s_waitcnt lgkmcnt(0)
	v_xor_b32_e32 v1, v1, v0
	v_and_b32_e32 v1, 0xff0000, v1
	v_cmp_eq_u32_e32 vcc, 0, v1
	s_cbranch_vccnz .LBB11_6
; %bb.5:                                ;   in Loop: Header=BB11_3 Depth=1
	s_barrier
	ds_read_b32 v0, v0
.LBB11_6:                               ;   in Loop: Header=BB11_3 Depth=1
	s_waitcnt lgkmcnt(0)
	v_lshlrev_b32_sdwa v1, v42, v0 dst_sel:DWORD dst_unused:UNUSED_PAD src0_sel:DWORD src1_sel:BYTE_2
	v_cmp_lt_u32_e32 vcc, v41, v1
	s_and_saveexec_b64 s[66:67], vcc
	s_cbranch_execz .LBB11_2
; %bb.7:                                ;   in Loop: Header=BB11_3 Depth=1
	s_mov_b64 s[8:9], s[60:61]
	s_mov_b32 s12, s62
	v_mov_b32_e32 v31, v40
	v_mov_b32_e32 v0, v41
	;; [unrolled: 1-line block ×3, first 2 shown]
	s_getpc_b64 s[4:5]
	s_add_u32 s4, s4, _ZN12_GLOBAL__N_17runRingIa7FuncSumIaE7ProtoLLLi0ELi4ELi0EEEviiP15ncclDevWorkColl@rel32@lo+4
	s_addc_u32 s5, s5, _ZN12_GLOBAL__N_17runRingIa7FuncSumIaE7ProtoLLLi0ELi4ELi0EEEviiP15ncclDevWorkColl@rel32@hi+12
	s_swappc_b64 s[30:31], s[4:5]
	s_branch .LBB11_2
.LBB11_8:
	buffer_load_dword v63, off, s[0:3], s33 ; 4-byte Folded Reload
	buffer_load_dword v42, off, s[0:3], s33 offset:4 ; 4-byte Folded Reload
	buffer_load_dword v41, off, s[0:3], s33 offset:8 ; 4-byte Folded Reload
	;; [unrolled: 1-line block ×3, first 2 shown]
	v_readlane_b32 s30, v43, 34
	v_readlane_b32 s31, v43, 35
	;; [unrolled: 1-line block ×37, first 2 shown]
	s_or_saveexec_b64 s[6:7], -1
	buffer_load_dword v43, off, s[0:3], s33 offset:16 ; 4-byte Folded Reload
	s_mov_b64 exec, s[6:7]
	s_addk_i32 s32, 0xf800
	s_mov_b32 s33, s4
	s_waitcnt vmcnt(0)
	s_setpc_b64 s[30:31]
.Lfunc_end11:
	.size	_Z42ncclDevFunc_Broadcast_RING_LL_Sum_i8_0_0_4v, .Lfunc_end11-_Z42ncclDevFunc_Broadcast_RING_LL_Sum_i8_0_0_4v
                                        ; -- End function
	.section	.AMDGPU.csdata,"",@progbits
; Function info:
; codeLenInByte = 956
; NumSgprs: 72
; NumVgprs: 64
; NumAgprs: 32
; TotalNumVgprs: 96
; ScratchSize: 64
; MemoryBound: 0
	.text
	.p2align	2                               ; -- Begin function _ZN12_GLOBAL__N_17runRingIa7FuncSumIaE11ProtoSimpleILi1ELi1ELi0ELi4ELi0ELi0EELi0ELi4ELi0EEEviiP15ncclDevWorkColl
	.type	_ZN12_GLOBAL__N_17runRingIa7FuncSumIaE11ProtoSimpleILi1ELi1ELi0ELi4ELi0ELi0EELi0ELi4ELi0EEEviiP15ncclDevWorkColl,@function
_ZN12_GLOBAL__N_17runRingIa7FuncSumIaE11ProtoSimpleILi1ELi1ELi0ELi4ELi0ELi0EELi0ELi4ELi0EEEviiP15ncclDevWorkColl: ; @_ZN12_GLOBAL__N_17runRingIa7FuncSumIaE11ProtoSimpleILi1ELi1ELi0ELi4ELi0ELi0EELi0ELi4ELi0EEEviiP15ncclDevWorkColl
; %bb.0:
	s_waitcnt vmcnt(0) expcnt(0) lgkmcnt(0)
	s_mov_b32 s4, s33
	s_mov_b32 s33, s32
	s_or_saveexec_b64 s[6:7], -1
	buffer_store_dword v63, off, s[0:3], s33 offset:108 ; 4-byte Folded Spill
	s_mov_b64 exec, s[6:7]
	v_writelane_b32 v63, s4, 54
	s_addk_i32 s32, 0x2000
	buffer_store_dword v40, off, s[0:3], s33 offset:88 ; 4-byte Folded Spill
	buffer_store_dword v41, off, s[0:3], s33 offset:84 ; 4-byte Folded Spill
	;; [unrolled: 1-line block ×22, first 2 shown]
	buffer_store_dword a39, off, s[0:3], s33 ; 4-byte Folded Spill
	v_writelane_b32 v63, s34, 0
	v_writelane_b32 v63, s35, 1
	;; [unrolled: 1-line block ×54, first 2 shown]
	s_trap 2
	ds_read_b64 v[4:5], v0
	flat_load_ushort v9, v[2:3] offset:8
	flat_load_dwordx2 v[18:19], v[2:3]
	ds_read_b32 v6, v0
	v_mov_b32_e32 v28, v0
                                        ; implicit-def: $vgpr36_vgpr37
                                        ; implicit-def: $vgpr52_vgpr53
                                        ; implicit-def: $vgpr40_vgpr41
	s_waitcnt lgkmcnt(0)
	flat_load_dwordx2 v[14:15], v[4:5]
	s_waitcnt vmcnt(0)
	v_mov_b32_e32 v8, v19
	v_cmp_ne_u32_sdwa s[4:5], v18, v6 src0_sel:BYTE_0 src1_sel:DWORD
	s_and_saveexec_b64 s[6:7], s[4:5]
	s_xor_b64 s[4:5], exec, s[6:7]
	s_cbranch_execz .LBB12_6
; %bb.1:
	v_not_b32_sdwa v0, v18 dst_sel:DWORD dst_unused:UNUSED_PAD src0_sel:BYTE_0
	v_cmp_ne_u32_sdwa s[6:7], v18, v6 src0_sel:BYTE_1 src1_sel:DWORD
                                        ; implicit-def: $vgpr36_vgpr37
                                        ; implicit-def: $vgpr52_vgpr53
                                        ; implicit-def: $vgpr40_vgpr41
	s_and_saveexec_b64 s[10:11], s[6:7]
	s_xor_b64 s[6:7], exec, s[10:11]
	s_cbranch_execz .LBB12_3
; %bb.2:
	flat_load_dwordx4 v[10:13], v[2:3] offset:72
	flat_load_dwordx2 v[4:5], v[2:3] offset:96
	v_add_u32_e32 v0, v6, v0
	v_ashrrev_i32_e32 v6, 31, v0
	s_waitcnt vmcnt(0) lgkmcnt(0)
	v_mul_lo_u32 v6, v12, v6
	v_mad_u64_u32 v[40:41], s[10:11], v12, v0, v[10:11]
	v_mul_lo_u32 v0, v13, v0
	v_lshrrev_b64 v[36:37], 21, v[4:5]
	v_add3_u32 v41, v0, v41, v6
	v_pk_mov_b32 v[52:53], v[12:13], v[12:13] op_sel:[0,1]
                                        ; implicit-def: $vgpr0
.LBB12_3:
	s_andn2_saveexec_b64 s[6:7], s[6:7]
	s_cbranch_execz .LBB12_5
; %bb.4:
	flat_load_dwordx4 v[10:13], v[2:3] offset:72
	flat_load_dwordx4 v[52:55], v[2:3] offset:88
	v_add_u32_sdwa v0, v18, v0 dst_sel:DWORD dst_unused:UNUSED_PAD src0_sel:BYTE_1 src1_sel:DWORD
	v_ashrrev_i32_e32 v4, 31, v0
	s_waitcnt vmcnt(0) lgkmcnt(0)
	v_mul_lo_u32 v4, v12, v4
	v_mad_u64_u32 v[40:41], s[10:11], v12, v0, v[10:11]
	v_mul_lo_u32 v0, v13, v0
	v_add3_u32 v41, v0, v41, v4
	v_lshrrev_b32_e32 v36, 10, v55
.LBB12_5:
	s_or_b64 exec, exec, s[6:7]
.LBB12_6:
	s_andn2_saveexec_b64 s[4:5], s[4:5]
	s_cbranch_execz .LBB12_8
; %bb.7:
	flat_load_dwordx2 v[52:53], v[2:3] offset:72
	flat_load_dwordx2 v[36:37], v[2:3] offset:96
	v_pk_mov_b32 v[40:41], 0, 0
.LBB12_8:
	s_or_b64 exec, exec, s[4:5]
	flat_load_dwordx4 v[10:13], v[2:3] offset:16
	s_brev_b32 s4, 34
	v_and_b32_e32 v0, 0x44000000, v18
	v_cmp_eq_u32_e64 s[20:21], s4, v0
	v_cndmask_b32_e64 v17, v1, 64, s[20:21]
	v_bfe_u32 v19, v8, 1, 30
	v_cmp_ge_i32_e32 vcc, v28, v17
	s_and_saveexec_b64 s[4:5], vcc
	s_xor_b64 s[6:7], exec, s[4:5]
	s_cbranch_execz .LBB12_40
; %bb.9:
	s_waitcnt vmcnt(0) lgkmcnt(0)
	v_cmp_ne_u64_e32 vcc, v[12:13], v[10:11]
	v_cmp_eq_u32_e64 s[4:5], v14, v19
	s_and_b64 s[10:11], vcc, s[4:5]
	s_and_saveexec_b64 s[4:5], s[10:11]
	s_cbranch_execz .LBB12_39
; %bb.10:
	v_sub_u32_e32 v25, v28, v17
	v_ashrrev_i32_e32 v0, 31, v25
	v_add_co_u32_e32 v2, vcc, v12, v40
	v_lshrrev_b32_e32 v0, 26, v0
	v_addc_co_u32_e32 v3, vcc, v13, v41, vcc
	v_add_u32_e32 v0, v25, v0
	v_add_co_u32_e32 v6, vcc, v10, v40
	v_and_b32_e32 v4, 0xffffffc0, v0
	v_addc_co_u32_e32 v7, vcc, v11, v41, vcc
	v_sub_u32_e32 v20, v25, v4
	v_cmp_gt_i32_e32 vcc, 1, v20
	v_mov_b32_e32 v8, 0
	s_and_saveexec_b64 s[10:11], vcc
; %bb.11:
	v_or_b32_e32 v4, v2, v6
	v_and_b32_e32 v4, 15, v4
	v_cmp_ne_u32_e32 vcc, 0, v4
	v_cndmask_b32_e64 v8, 0, 1, vcc
; %bb.12:
	s_or_b64 exec, exec, s[10:11]
	v_ashrrev_i32_e32 v26, 6, v0
	v_sub_u32_e32 v24, v1, v17
	;;#ASMSTART
	;;#ASMEND
	v_cmp_ne_u32_e32 vcc, 0, v8
	s_cbranch_vccz .LBB12_14
; %bb.13:
	s_mov_b64 s[14:15], -1
	v_pk_mov_b32 v[0:1], 0, 0
	s_and_b64 exec, exec, s[14:15]
	s_cbranch_execnz .LBB12_31
	s_branch .LBB12_39
.LBB12_14:
	v_ashrrev_i32_e32 v0, 31, v53
	v_lshrrev_b32_e32 v0, 20, v0
	v_add_co_u32_e32 v0, vcc, v52, v0
	v_addc_co_u32_e32 v1, vcc, 0, v53, vcc
	v_ashrrev_i64 v[0:1], 12, v[0:1]
	v_ashrrev_i32_e32 v4, 31, v26
	v_sub_co_u32_e32 v8, vcc, v0, v26
	v_subb_co_u32_e32 v9, vcc, v1, v4, vcc
	s_mov_b64 s[14:15], 0
	v_cmp_lt_i64_e32 vcc, 0, v[8:9]
	s_and_saveexec_b64 s[10:11], vcc
	s_cbranch_execz .LBB12_18
; %bb.15:
	v_lshlrev_b32_e32 v4, 4, v20
	v_lshl_add_u32 v14, v26, 12, v4
	v_ashrrev_i32_e32 v4, 31, v24
	v_lshrrev_b32_e32 v4, 26, v4
	v_add_u32_e32 v4, v24, v4
	v_ashrrev_i32_e32 v18, 6, v4
	v_mov_b32_e32 v4, 0xfffff000
	v_lshl_add_u32 v4, v18, 12, v4
	v_ashrrev_i32_e32 v5, 31, v4
	v_add_co_u32_e32 v21, vcc, 0x1000, v4
	v_ashrrev_i32_e32 v15, 31, v14
	v_ashrrev_i32_e32 v19, 31, v18
	v_addc_co_u32_e32 v22, vcc, 0, v5, vcc
.LBB12_16:                              ; =>This Inner Loop Header: Depth=1
	v_add_co_u32_e32 v4, vcc, v14, v2
	v_addc_co_u32_e32 v5, vcc, v15, v3, vcc
	global_load_dwordx4 v[26:29], v[4:5], off glc slc
	global_load_dwordx4 v[30:33], v[4:5], off offset:1024 glc slc
	global_load_dwordx4 v[34:37], v[4:5], off offset:2048 glc slc
	;; [unrolled: 1-line block ×3, first 2 shown]
	v_add_co_u32_e32 v4, vcc, v14, v6
	v_addc_co_u32_e32 v5, vcc, v15, v7, vcc
	v_sub_co_u32_e32 v8, vcc, v8, v18
	v_subb_co_u32_e32 v9, vcc, v9, v19, vcc
	v_add_co_u32_e32 v2, vcc, v2, v21
	v_addc_co_u32_e32 v3, vcc, v3, v22, vcc
	v_add_co_u32_e32 v6, vcc, v6, v21
	v_addc_co_u32_e32 v7, vcc, v7, v22, vcc
	v_cmp_gt_i64_e32 vcc, 1, v[8:9]
	s_or_b64 s[14:15], vcc, s[14:15]
	s_waitcnt vmcnt(3)
	global_store_dwordx4 v[4:5], v[26:29], off glc slc
	s_waitcnt vmcnt(3)
	global_store_dwordx4 v[4:5], v[30:33], off offset:1024 glc slc
	s_waitcnt vmcnt(3)
	global_store_dwordx4 v[4:5], v[34:37], off offset:2048 glc slc
	;; [unrolled: 2-line block ×3, first 2 shown]
	s_andn2_b64 exec, exec, s[14:15]
	s_cbranch_execnz .LBB12_16
; %bb.17:
	s_or_b64 exec, exec, s[14:15]
.LBB12_18:
	s_or_b64 exec, exec, s[10:11]
	v_lshlrev_b64 v[14:15], 12, v[0:1]
	v_cmp_ne_u64_e32 vcc, v[52:53], v[14:15]
	s_mov_b64 s[14:15], 0
	v_pk_mov_b32 v[0:1], 0, 0
                                        ; implicit-def: $vgpr25
                                        ; implicit-def: $vgpr26
	s_and_saveexec_b64 s[10:11], vcc
	s_cbranch_execz .LBB12_30
; %bb.19:
	v_sub_co_u32_e32 v9, vcc, v52, v14
	v_subb_co_u32_e32 v5, vcc, v53, v15, vcc
	v_ashrrev_i32_e32 v0, 31, v5
	v_lshrrev_b32_e32 v0, 22, v0
	v_add_co_u32_e32 v2, vcc, v9, v0
	v_addc_co_u32_e32 v3, vcc, 0, v5, vcc
	v_and_b32_e32 v0, 0xfffffc00, v2
	v_add_co_u32_e32 v6, vcc, v0, v14
	v_addc_co_u32_e32 v7, vcc, v3, v15, vcc
	v_ashrrev_i64 v[18:19], 10, v[2:3]
	v_sub_co_u32_e32 v2, vcc, v9, v0
	v_subb_co_u32_e32 v3, vcc, v5, v3, vcc
	v_mov_b32_e32 v1, 0
	v_cmp_lt_i64_e32 vcc, 15, v[2:3]
	s_and_saveexec_b64 s[14:15], vcc
; %bb.20:
	v_add_co_u32_e32 v18, vcc, 1, v18
	v_addc_co_u32_e32 v19, vcc, 0, v19, vcc
	v_and_b32_e32 v0, 15, v52
	v_sub_co_u32_e32 v2, vcc, v2, v0
	v_subbrev_co_u32_e32 v3, vcc, 0, v3, vcc
	v_add_co_u32_e32 v6, vcc, v2, v6
	v_addc_co_u32_e32 v7, vcc, v3, v7, vcc
	v_pk_mov_b32 v[2:3], v[0:1], v[0:1] op_sel:[0,1]
; %bb.21:
	s_or_b64 exec, exec, s[14:15]
	v_lshlrev_b32_e32 v0, 6, v8
	v_sub_u32_e32 v0, v20, v0
	v_ashrrev_i32_e32 v1, 31, v0
	v_lshrrev_b32_e32 v1, 26, v1
	v_add_u32_e32 v1, v0, v1
	v_ashrrev_i32_e32 v4, 6, v1
	v_and_b32_e32 v1, 0xffffffc0, v1
	v_sub_u32_e32 v22, v0, v1
	v_lshlrev_b32_e32 v0, 4, v22
	v_lshl_add_u32 v20, v4, 10, v0
	v_ashrrev_i32_e32 v21, 31, v20
	v_sub_co_u32_e32 v0, vcc, v9, v20
	v_subb_co_u32_e32 v1, vcc, v5, v21, vcc
	v_ashrrev_i32_e32 v5, 31, v4
	v_sub_co_u32_e32 v4, vcc, v18, v4
	v_subb_co_u32_e32 v5, vcc, v19, v5, vcc
	v_cmp_lt_i64_e32 vcc, 15, v[0:1]
	s_and_saveexec_b64 s[14:15], vcc
	s_cbranch_execz .LBB12_25
; %bb.22:
	v_ashrrev_i32_e32 v8, 31, v24
	v_lshrrev_b32_e32 v8, 26, v8
	v_add_u32_e32 v8, v24, v8
	v_ashrrev_i32_e32 v8, 6, v8
	v_lshlrev_b32_e32 v18, 10, v8
	v_add_u32_e32 v9, 0xfffffc00, v18
	v_ashrrev_i32_e32 v16, 31, v9
	v_add_co_u32_e32 v23, vcc, 0x400, v9
	v_addc_co_u32_e32 v25, vcc, 0, v16, vcc
	v_add_co_u32_e32 v14, vcc, v40, v14
	v_addc_co_u32_e32 v15, vcc, v41, v15, vcc
	v_add_co_u32_e32 v14, vcc, v14, v20
	v_ashrrev_i32_e32 v9, 31, v18
	v_ashrrev_i32_e32 v19, 31, v8
	v_addc_co_u32_e32 v15, vcc, v15, v21, vcc
	s_mov_b64 s[16:17], 0
.LBB12_23:                              ; =>This Inner Loop Header: Depth=1
	v_add_co_u32_e32 v16, vcc, v12, v14
	v_addc_co_u32_e32 v17, vcc, v13, v15, vcc
	global_load_dwordx4 v[26:29], v[16:17], off glc slc
	v_add_co_u32_e32 v16, vcc, v10, v14
	v_addc_co_u32_e32 v17, vcc, v11, v15, vcc
	v_sub_co_u32_e32 v0, vcc, v0, v18
	v_subb_co_u32_e32 v1, vcc, v1, v9, vcc
	v_sub_co_u32_e32 v4, vcc, v4, v8
	v_subb_co_u32_e32 v5, vcc, v5, v19, vcc
	v_add_co_u32_e32 v14, vcc, v14, v23
	v_addc_co_u32_e32 v15, vcc, v15, v25, vcc
	v_cmp_gt_i64_e32 vcc, 16, v[0:1]
	s_or_b64 s[16:17], vcc, s[16:17]
	s_waitcnt vmcnt(0)
	global_store_dwordx4 v[16:17], v[26:29], off glc slc
	s_andn2_b64 exec, exec, s[16:17]
	s_cbranch_execnz .LBB12_23
; %bb.24:
	s_or_b64 exec, exec, s[16:17]
.LBB12_25:
	s_or_b64 exec, exec, s[14:15]
	s_mov_b64 s[14:15], 0
	v_cmp_lt_i64_e32 vcc, 0, v[4:5]
	s_and_saveexec_b64 s[16:17], vcc
; %bb.26:
	v_ashrrev_i32_e32 v0, 31, v24
	v_lshrrev_b32_e32 v0, 26, v0
	v_add_u32_e32 v0, v24, v0
	v_ashrrev_i32_e32 v0, 6, v0
	v_sub_co_u32_e32 v4, vcc, v4, v0
; %bb.27:
	s_or_b64 exec, exec, s[16:17]
	v_cmp_ne_u64_e32 vcc, 0, v[2:3]
	v_pk_mov_b32 v[0:1], 0, 0
                                        ; implicit-def: $vgpr25
                                        ; implicit-def: $vgpr26
	s_and_saveexec_b64 s[16:17], vcc
; %bb.28:
	v_lshlrev_b32_e32 v0, 6, v4
	v_sub_u32_e32 v25, v22, v0
	v_ashrrev_i32_e32 v0, 31, v25
	v_lshrrev_b32_e32 v0, 26, v0
	v_add_u32_e32 v0, v25, v0
	s_mov_b64 s[14:15], exec
	v_ashrrev_i32_e32 v26, 6, v0
	v_pk_mov_b32 v[0:1], v[6:7], v[6:7] op_sel:[0,1]
; %bb.29:
	s_or_b64 exec, exec, s[16:17]
	s_and_b64 s[14:15], s[14:15], exec
	v_pk_mov_b32 v[52:53], v[2:3], v[2:3] op_sel:[0,1]
.LBB12_30:
	s_or_b64 exec, exec, s[10:11]
	s_and_b64 exec, exec, s[14:15]
	s_cbranch_execz .LBB12_39
.LBB12_31:
	v_ashrrev_i32_e32 v2, 31, v53
	v_lshrrev_b32_e32 v2, 21, v2
	v_add_co_u32_e32 v2, vcc, v52, v2
	v_addc_co_u32_e32 v3, vcc, 0, v53, vcc
	v_ashrrev_i64 v[6:7], 11, v[2:3]
	v_ashrrev_i32_e32 v3, 31, v26
	v_sub_co_u32_e32 v2, vcc, v6, v26
	v_subb_co_u32_e32 v3, vcc, v7, v3, vcc
	s_mov_b64 s[14:15], 0
	v_cmp_lt_i64_e32 vcc, 0, v[2:3]
	s_and_saveexec_b64 s[10:11], vcc
	s_cbranch_execz .LBB12_35
; %bb.32:
	v_ashrrev_i32_e32 v4, 31, v25
	v_lshrrev_b32_e32 v4, 26, v4
	v_add_u32_e32 v4, v25, v4
	v_and_b32_e32 v4, 0xffffffc0, v4
	v_sub_u32_e32 v4, v25, v4
	v_lshl_add_u32 v8, v26, 11, v4
	v_ashrrev_i32_e32 v4, 31, v24
	v_lshrrev_b32_e32 v4, 26, v4
	v_add_u32_e32 v4, v24, v4
	v_ashrrev_i32_e32 v14, 6, v4
	v_mov_b32_e32 v4, 0xfffff800
	v_lshl_add_u32 v4, v14, 11, v4
	s_movk_i32 s13, 0x800
	v_ashrrev_i32_e32 v5, 31, v4
	v_add_co_u32_e32 v27, vcc, s13, v4
	v_addc_co_u32_e32 v28, vcc, 0, v5, vcc
	v_add_co_u32_e32 v4, vcc, v40, v0
	v_addc_co_u32_e32 v5, vcc, v41, v1, vcc
	v_add_co_u32_e32 v18, vcc, v4, v12
	v_addc_co_u32_e32 v19, vcc, v5, v13, vcc
	v_accvgpr_write_b32 a2, v52
	v_accvgpr_write_b32 a0, v40
	v_add_co_u32_e32 v20, vcc, v4, v10
	v_accvgpr_write_b32 a3, v53
	v_ashrrev_i32_e32 v9, 31, v8
	v_ashrrev_i32_e32 v15, 31, v14
	v_accvgpr_write_b32 a1, v41
	v_addc_co_u32_e32 v21, vcc, v5, v11, vcc
.LBB12_33:                              ; =>This Inner Loop Header: Depth=1
	v_add_co_u32_e32 v4, vcc, v8, v18
	v_addc_co_u32_e32 v5, vcc, v9, v19, vcc
	flat_load_ubyte v16, v[4:5] glc slc
	flat_load_ubyte v17, v[4:5] offset:64 glc slc
	flat_load_ubyte v29, v[4:5] offset:128 glc slc
	;; [unrolled: 1-line block ×30, first 2 shown]
	s_nop 0
	flat_load_ubyte v4, v[4:5] offset:1984 glc slc
	v_add_co_u32_e32 v22, vcc, v8, v20
	v_addc_co_u32_e32 v23, vcc, v9, v21, vcc
	v_sub_co_u32_e32 v2, vcc, v2, v14
	v_subb_co_u32_e32 v3, vcc, v3, v15, vcc
	v_add_co_u32_e32 v18, vcc, v18, v27
	v_addc_co_u32_e32 v19, vcc, v19, v28, vcc
	v_add_co_u32_e32 v20, vcc, v20, v27
	v_addc_co_u32_e32 v21, vcc, v21, v28, vcc
	v_cmp_gt_i64_e32 vcc, 1, v[2:3]
	s_or_b64 s[14:15], vcc, s[14:15]
	s_waitcnt vmcnt(0) lgkmcnt(0)
	flat_store_byte v[22:23], v16 glc slc
	flat_store_byte v[22:23], v17 offset:64 glc slc
	flat_store_byte v[22:23], v29 offset:128 glc slc
	;; [unrolled: 1-line block ×31, first 2 shown]
	s_andn2_b64 exec, exec, s[14:15]
	s_cbranch_execnz .LBB12_33
; %bb.34:
	s_or_b64 exec, exec, s[14:15]
	v_accvgpr_read_b32 v41, a1
	v_accvgpr_read_b32 v53, a3
	;; [unrolled: 1-line block ×4, first 2 shown]
.LBB12_35:
	s_or_b64 exec, exec, s[10:11]
	v_lshlrev_b64 v[6:7], 11, v[6:7]
	v_cmp_ne_u64_e32 vcc, v[52:53], v[6:7]
	s_and_b64 exec, exec, vcc
	s_cbranch_execz .LBB12_39
; %bb.36:
	v_lshlrev_b32_e32 v3, 6, v26
	v_sub_u32_e32 v3, v25, v3
	v_lshlrev_b32_e32 v2, 6, v2
	v_sub_u32_e32 v8, v3, v2
	v_ashrrev_i32_e32 v9, 31, v8
	v_add_co_u32_e32 v2, vcc, v6, v8
	v_addc_co_u32_e32 v3, vcc, v7, v9, vcc
	v_sub_co_u32_e32 v2, vcc, v52, v2
	v_subb_co_u32_e32 v3, vcc, v53, v3, vcc
	s_mov_b64 s[10:11], 0
	v_cmp_lt_i64_e32 vcc, 0, v[2:3]
	s_and_b64 exec, exec, vcc
	s_cbranch_execz .LBB12_39
; %bb.37:
	v_ashrrev_i32_e32 v4, 31, v24
	v_lshrrev_b32_e32 v4, 26, v4
	v_add_u32_e32 v4, v24, v4
	v_and_b32_e32 v4, 0xffffffc0, v4
	v_subrev_u32_e32 v5, 64, v4
	v_ashrrev_i32_e32 v15, 31, v5
	v_add_co_u32_e32 v14, vcc, 64, v5
	v_addc_co_u32_e32 v15, vcc, 0, v15, vcc
	v_add_co_u32_e32 v0, vcc, v40, v0
	v_addc_co_u32_e32 v1, vcc, v41, v1, vcc
	;; [unrolled: 2-line block ×3, first 2 shown]
	v_add_co_u32_e32 v0, vcc, v0, v8
	v_ashrrev_i32_e32 v5, 31, v4
	v_addc_co_u32_e32 v1, vcc, v1, v9, vcc
.LBB12_38:                              ; =>This Inner Loop Header: Depth=1
	v_add_co_u32_e32 v6, vcc, v12, v0
	v_addc_co_u32_e32 v7, vcc, v13, v1, vcc
	flat_load_ubyte v8, v[6:7] glc slc
	v_add_co_u32_e32 v6, vcc, v10, v0
	v_addc_co_u32_e32 v7, vcc, v11, v1, vcc
	v_sub_co_u32_e32 v2, vcc, v2, v4
	v_subb_co_u32_e32 v3, vcc, v3, v5, vcc
	v_add_co_u32_e32 v0, vcc, v0, v14
	v_addc_co_u32_e32 v1, vcc, v1, v15, vcc
	v_cmp_gt_i64_e32 vcc, 1, v[2:3]
	s_or_b64 s[10:11], vcc, s[10:11]
	s_waitcnt vmcnt(0) lgkmcnt(0)
	flat_store_byte v[6:7], v8 glc slc
	s_andn2_b64 exec, exec, s[10:11]
	s_cbranch_execnz .LBB12_38
.LBB12_39:
	s_or_b64 exec, exec, s[4:5]
                                        ; implicit-def: $vgpr14_vgpr15
                                        ; implicit-def: $vgpr40_vgpr41
                                        ; implicit-def: $vgpr52_vgpr53
                                        ; implicit-def: $vgpr36_vgpr37
                                        ; implicit-def: $vgpr19
                                        ; implicit-def: $vgpr10_vgpr11
                                        ; implicit-def: $vgpr17
                                        ; implicit-def: $vgpr28
                                        ; implicit-def: $vgpr31
                                        ; implicit-def: $vgpr8_vgpr9
                                        ; implicit-def: $vgpr2_vgpr3
.LBB12_40:
	s_andn2_saveexec_b64 s[44:45], s[6:7]
	s_cbranch_execz .LBB12_1037
; %bb.41:
	s_trap 2
	ds_read_b64 v[6:7], v0
	s_waitcnt lgkmcnt(0)
	v_cmp_ne_u32_e32 vcc, -1, v6
	v_cndmask_b32_e64 v1, 0, 1, vcc
	v_cmp_ne_u32_e32 vcc, -1, v7
	v_addc_co_u32_e64 v0, s[4:5], 0, v1, vcc
	v_lshlrev_b32_e32 v4, 1, v0
	v_cmp_le_i32_e64 s[4:5], v4, v17
	s_and_saveexec_b64 s[6:7], s[4:5]
	s_xor_b64 s[46:47], exec, s[6:7]
	s_cbranch_execz .LBB12_1034
; %bb.42:
	flat_load_dwordx2 v[32:33], v[2:3] offset:104
	s_trap 2
	s_load_dword s4, s[8:9], 0x0
	v_mov_b32_e32 v4, 0
	v_mov_b32_e32 v46, 4
	s_waitcnt lgkmcnt(0)
	s_cmp_lt_u32 s12, s4
	s_cselect_b32 s4, 12, 18
	s_add_u32 s4, s8, s4
	s_addc_u32 s5, s9, 0
	global_load_ushort v16, v4, s[4:5]
	ds_read_b32 v4, v0
	v_cmp_ge_i32_e64 s[4:5], v28, v1
	s_waitcnt lgkmcnt(0)
	v_readfirstlane_b32 s22, v4
	s_and_saveexec_b64 s[6:7], s[4:5]
	s_cbranch_execz .LBB12_52
; %bb.43:
	v_cmp_le_u32_e64 s[4:5], v0, v28
                                        ; implicit-def: $vgpr46
	s_and_saveexec_b64 s[10:11], s[4:5]
	s_xor_b64 s[4:5], exec, s[10:11]
	s_cbranch_execz .LBB12_49
; %bb.44:
	v_cndmask_b32_e64 v4, 0, 1, vcc
	v_sub_u32_e32 v4, v17, v4
	v_cmp_ge_u32_e32 vcc, v28, v4
                                        ; implicit-def: $sgpr12
	s_and_saveexec_b64 s[10:11], vcc
	s_xor_b64 s[10:11], exec, s[10:11]
; %bb.45:
	s_mov_b32 s12, 16
                                        ; implicit-def: $vgpr0
; %bb.46:
	s_or_saveexec_b64 s[10:11], s[10:11]
	v_mov_b32_e32 v46, s12
	s_xor_b64 exec, exec, s[10:11]
; %bb.47:
	v_sub_u32_e32 v0, v17, v0
	v_cmp_ge_i32_e32 vcc, v28, v0
	v_cndmask_b32_e64 v0, 0, 1, vcc
	v_lshlrev_b32_e32 v46, 5, v0
; %bb.48:
	s_or_b64 exec, exec, s[10:11]
.LBB12_49:
	s_andn2_saveexec_b64 s[4:5], s[4:5]
; %bb.50:
	v_mov_b32_e32 v46, 8
; %bb.51:
	s_or_b64 exec, exec, s[4:5]
.LBB12_52:
	s_or_b64 exec, exec, s[6:7]
	v_and_b32_e32 v0, 36, v46
	v_cmp_ne_u32_e32 vcc, 0, v0
	v_mov_b32_e32 v38, -1
	s_and_saveexec_b64 s[4:5], vcc
	s_cbranch_execz .LBB12_54
; %bb.53:
	s_trap 2
	ds_read_b32 v38, v0
.LBB12_54:
	s_or_b64 exec, exec, s[4:5]
	v_and_b32_e32 v0, 24, v46
	v_cmp_ne_u32_e64 s[4:5], 0, v0
	s_and_saveexec_b64 s[6:7], s[4:5]
	s_cbranch_execz .LBB12_56
; %bb.55:
	s_trap 2
	s_waitcnt lgkmcnt(0)
	ds_read_b32 v38, v0
.LBB12_56:
	s_or_b64 exec, exec, s[6:7]
	v_lshrrev_b64 v[6:7], 31, v[8:9]
	v_pk_mov_b32 v[48:49], 0, 0
	v_and_b32_e32 v18, 3, v6
	s_waitcnt lgkmcnt(0)
	v_ashrrev_i32_e32 v39, 31, v38
	v_pk_mov_b32 v[6:7], v[48:49], v[48:49] op_sel:[0,1]
                                        ; implicit-def: $agpr8_agpr9
                                        ; implicit-def: $vgpr30
                                        ; implicit-def: $vgpr56_vgpr57
                                        ; implicit-def: $vgpr34_vgpr35
                                        ; implicit-def: $vgpr22_vgpr23
	s_and_saveexec_b64 s[4:5], vcc
	s_cbranch_execz .LBB12_66
; %bb.57:
	s_trap 2
	ds_read_b64 v[6:7], v0
	v_lshlrev_b64 v[8:9], 3, v[38:39]
	v_and_b32_e32 v0, 0xffff, v18
	s_movk_i32 s6, 0xa8
                                        ; implicit-def: $agpr8_agpr9
	s_waitcnt lgkmcnt(0)
	v_add_co_u32_e32 v6, vcc, v6, v8
	v_addc_co_u32_e32 v7, vcc, v7, v9, vcc
	flat_load_dwordx2 v[6:7], v[6:7]
	s_waitcnt vmcnt(0) lgkmcnt(0)
	v_mad_u64_u32 v[6:7], s[6:7], v0, s6, v[6:7]
	flat_load_dword v0, v[6:7] offset:640
	v_add_co_u32_e32 v48, vcc, 0x1f8, v6
	v_addc_co_u32_e32 v49, vcc, 0, v7, vcc
	s_waitcnt vmcnt(0) lgkmcnt(0)
	v_cmp_eq_u32_e32 vcc, 1, v0
	s_and_saveexec_b64 s[6:7], vcc
	s_cbranch_execz .LBB12_59
; %bb.58:
	flat_load_dwordx2 v[4:5], v[48:49] offset:144
	v_or_b32_e32 v46, 0x2000, v46
	s_waitcnt vmcnt(0) lgkmcnt(0)
	flat_load_dwordx2 v[6:7], v[4:5]
	s_trap 2
	v_accvgpr_write_b32 a9, v5
	v_accvgpr_write_b32 a8, v4
	s_waitcnt vmcnt(0) lgkmcnt(0)
	ds_write_b64 v0, v[6:7]
	flat_load_dwordx2 v[6:7], v[4:5] offset:8
	s_waitcnt vmcnt(0) lgkmcnt(0)
	ds_write_b64 v0, v[6:7]
	flat_load_dwordx2 v[6:7], v[4:5] offset:16
	s_waitcnt vmcnt(0) lgkmcnt(0)
	ds_write_b64 v0, v[6:7]
.LBB12_59:
	s_or_b64 exec, exec, s[6:7]
	flat_load_dwordx2 v[8:9], v[48:49] offset:104
	v_and_b32_e32 v0, 32, v46
	v_cmp_ne_u32_e32 vcc, 0, v0
                                        ; implicit-def: $vgpr22_vgpr23
	s_and_saveexec_b64 s[6:7], vcc
	s_cbranch_execz .LBB12_61
; %bb.60:
	flat_load_dwordx2 v[22:23], v[48:49] offset:56
	s_waitcnt vmcnt(0) lgkmcnt(0)
	flat_store_dwordx2 v[22:23], v[8:9]
.LBB12_61:
	s_or_b64 exec, exec, s[6:7]
	v_and_b32_e32 v0, 4, v46
	v_cmp_ne_u32_e32 vcc, 0, v0
	v_pk_mov_b32 v[6:7], 0, 0
                                        ; implicit-def: $vgpr30
                                        ; implicit-def: $vgpr56_vgpr57
                                        ; implicit-def: $vgpr34_vgpr35
	s_and_saveexec_b64 s[6:7], vcc
	s_cbranch_execz .LBB12_65
; %bb.62:
	v_and_b32_e32 v0, 0x800, v46
	v_cmp_eq_u32_e32 vcc, 0, v0
	s_and_saveexec_b64 s[10:11], vcc
	s_cbranch_execz .LBB12_64
; %bb.63:
	s_trap 2
	ds_write_b64 v0, v[48:49]
.LBB12_64:
	s_or_b64 exec, exec, s[10:11]
	flat_load_dwordx2 v[22:23], v[48:49] offset:48
	v_or_b32_e32 v0, 0x100, v46
	s_waitcnt vmcnt(0) lgkmcnt(0)
	flat_load_dwordx2 v[34:35], v[22:23] glc
	flat_load_dwordx2 v[6:7], v[48:49] offset:96
	flat_load_dword v30, v[48:49] offset:72
	flat_load_dwordx2 v[56:57], v[48:49] offset:16
	s_waitcnt vmcnt(0) lgkmcnt(0)
	v_cmp_eq_u64_e32 vcc, 0, v[6:7]
	v_cndmask_b32_e32 v46, v0, v46, vcc
.LBB12_65:
	s_or_b64 exec, exec, s[6:7]
.LBB12_66:
	s_or_b64 exec, exec, s[4:5]
	v_and_b32_e32 v0, 24, v46
	v_cmp_ne_u32_e32 vcc, 0, v0
                                        ; implicit-def: $vgpr44_vgpr45
	s_and_saveexec_b64 s[4:5], vcc
	s_cbranch_execz .LBB12_74
; %bb.67:
	s_trap 2
	ds_read_b64 v[6:7], v0
	s_waitcnt vmcnt(0) lgkmcnt(0)
	v_lshlrev_b64 v[8:9], 3, v[38:39]
	v_and_b32_e32 v0, 0xffff, v18
	s_movk_i32 s6, 0xa8
                                        ; implicit-def: $vgpr44_vgpr45
	v_add_co_u32_e32 v6, vcc, v6, v8
	v_addc_co_u32_e32 v7, vcc, v7, v9, vcc
	flat_load_dwordx2 v[6:7], v[6:7]
	s_waitcnt vmcnt(0) lgkmcnt(0)
	v_mad_u64_u32 v[48:49], s[6:7], v0, s6, v[6:7]
	flat_load_dwordx4 v[6:9], v[48:49] offset:96
	v_or_b32_e32 v0, 0x100, v46
	s_waitcnt vmcnt(0) lgkmcnt(0)
	v_cmp_eq_u64_e32 vcc, 0, v[6:7]
	v_cndmask_b32_e32 v46, v0, v46, vcc
	v_and_b32_e32 v0, 16, v46
	v_cmp_ne_u32_e32 vcc, 0, v0
	s_and_saveexec_b64 s[6:7], vcc
	s_cbranch_execz .LBB12_69
; %bb.68:
	flat_load_dwordx2 v[44:45], v[48:49] offset:120
	flat_load_dwordx2 v[22:23], v[48:49] offset:48
	;; [unrolled: 1-line block ×3, first 2 shown]
.LBB12_69:
	s_or_b64 exec, exec, s[6:7]
	v_and_b32_e32 v0, 8, v46
	v_cmp_ne_u32_e32 vcc, 0, v0
	s_and_saveexec_b64 s[6:7], vcc
	s_cbranch_execz .LBB12_73
; %bb.70:
	v_and_b32_e32 v0, 0x800, v46
	v_cmp_eq_u32_e32 vcc, 0, v0
	s_and_saveexec_b64 s[10:11], vcc
	s_cbranch_execz .LBB12_72
; %bb.71:
	s_trap 2
	ds_write_b64 v0, v[48:49]
.LBB12_72:
	s_or_b64 exec, exec, s[10:11]
	s_waitcnt vmcnt(0) lgkmcnt(0)
	flat_load_dwordx2 v[22:23], v[48:49] offset:56
	s_waitcnt vmcnt(0) lgkmcnt(0)
	flat_load_dwordx2 v[34:35], v[22:23] glc
	flat_load_dword v30, v[48:49] offset:72
	flat_load_dwordx2 v[56:57], v[48:49] offset:16
.LBB12_73:
	s_or_b64 exec, exec, s[6:7]
.LBB12_74:
	s_or_b64 exec, exec, s[4:5]
	v_cmp_eq_u32_e64 s[4:5], 0, v28
	s_and_saveexec_b64 s[6:7], s[4:5]
	s_cbranch_execz .LBB12_76
; %bb.75:
	flat_load_dwordx2 v[20:21], v[2:3] offset:32
	s_waitcnt vmcnt(0)
	v_mov_b32_e32 v24, v12
	v_mov_b32_e32 v25, v13
	;; [unrolled: 1-line block ×4, first 2 shown]
	ds_write2_b64 v0, v[24:25], v[26:27] offset1:1
	s_trap 2
	s_waitcnt lgkmcnt(0)
	ds_write_b64 v0, v[20:21]
	ds_write_b64 v0, v[32:33]
.LBB12_76:
	s_or_b64 exec, exec, s[6:7]
	s_mov_b64 s[50:51], 0
	s_waitcnt vmcnt(0)
	v_cmp_ne_u64_e32 vcc, 0, v[52:53]
	v_pk_mov_b32 v[32:33], 0, 0
	s_and_saveexec_b64 s[48:49], vcc
	s_cbranch_execz .LBB12_998
; %bb.77:
	flat_load_dword v0, v[2:3] offset:4
	s_waitcnt lgkmcnt(0)
	v_ashrrev_i32_e32 v5, 31, v30
	v_lshlrev_b32_e32 v4, 9, v36
	v_cmp_ne_u32_e64 s[10:11], v15, v19
	v_accvgpr_write_b32 a13, v5
	v_and_b32_e32 v5, 63, v31
	v_lshrrev_b32_e32 v36, 6, v17
	v_mov_b32_e32 v15, 0xfffff000
	s_movk_i32 s26, 0x1000
	v_cmp_ne_u64_e32 vcc, v[12:13], v[10:11]
	s_xor_b64 s[24:25], s[20:21], -1
	v_cmp_eq_u32_e64 s[20:21], 0, v5
	v_lshl_add_u32 v5, v36, 12, v15
	v_cmp_eq_u32_e64 s[12:13], 64, v17
	v_cmp_ne_u32_e64 s[14:15], 64, v17
	v_accvgpr_write_b32 a7, v16
	v_cmp_ne_u32_sdwa s[52:53], v17, v16 src0_sel:DWORD src1_sel:WORD_0
	v_mov_b32_e32 v16, 0xfffff800
	v_accvgpr_write_b32 a5, v17
	v_and_b32_e32 v29, 0xffffffc0, v17
	s_and_b64 s[54:55], s[24:25], vcc
	v_ashrrev_i32_e32 v13, 31, v5
	v_add_co_u32_e32 v17, vcc, s26, v5
	v_accvgpr_write_b32 a10, v48
	v_cmp_ne_u32_e64 s[6:7], v14, v19
	v_ashrrev_i32_e32 v14, 31, v28
	s_movk_i32 s28, 0x800
	v_lshl_add_u32 v12, v36, 11, v16
	v_addc_co_u32_e32 v61, vcc, 0, v13, vcc
	v_accvgpr_write_b32 a11, v49
	v_cvt_f64_u32_e32 v[2:3], 0
	v_and_b32_e32 v48, 0x3ffffe00, v4
	v_lshrrev_b32_e32 v4, 26, v14
	v_ashrrev_i32_e32 v14, 31, v12
	v_add_co_u32_e32 v59, vcc, s28, v12
	v_ldexp_f64 v[2:3], v[2:3], 32
	v_subrev_u32_e32 v54, 64, v29
	v_cvt_f64_u32_e32 v[10:11], v48
	v_add_u32_e32 v4, v28, v4
	v_addc_co_u32_e32 v62, vcc, 0, v14, vcc
	v_lshlrev_b32_e32 v50, 10, v36
	v_ashrrev_i32_e32 v27, 31, v54
	v_add_f64 v[24:25], v[2:3], v[10:11]
	v_ashrrev_i32_e32 v51, 6, v4
	v_and_b32_e32 v2, 0xffffffc0, v4
	v_add_co_u32_e32 v55, vcc, 64, v54
	s_ashr_i32 s23, s22, 31
	s_movk_i32 s27, 0x400
	v_add_u32_e32 v18, 0xfffffc00, v50
	v_addc_co_u32_e32 v26, vcc, 0, v27, vcc
	v_sub_u32_e32 v4, v28, v2
	v_lshlrev_b32_e32 v2, 12, v51
	s_lshr_b32 s23, s23, 24
	v_ashrrev_i32_e32 v3, 31, v18
	v_accvgpr_write_b32 a24, v18
	v_add_co_u32_e32 v43, vcc, s27, v18
	v_lshl_add_u32 v18, v4, 4, v2
	s_add_i32 s22, s22, s23
	s_trap 2
	s_ashr_i32 s84, s22, 8
	v_cmp_lt_i32_e64 s[22:23], v4, v1
	v_cmp_le_i32_e64 s[24:25], v4, v1
	v_pk_mov_b32 v[38:39], 0, 0
	v_accvgpr_write_b32 a29, v3
	v_addc_co_u32_e32 v3, vcc, 0, v3, vcc
	v_ashrrev_i32_e32 v21, 31, v18
	v_accvgpr_write_b32 a0, v40
	v_accvgpr_write_b32 a2, v52
	;; [unrolled: 1-line block ×5, first 2 shown]
	s_movk_i32 s80, 0xffc0
	s_waitcnt vmcnt(0)
	v_and_b32_e32 v0, 1, v0
	v_cmp_eq_u32_e64 s[28:29], 1, v0
	v_mov_b32_e32 v0, v18
	buffer_store_dword v0, off, s[0:3], s33 offset:92 ; 4-byte Folded Spill
	s_nop 0
	buffer_store_dword v1, off, s[0:3], s33 offset:96 ; 4-byte Folded Spill
	s_movk_i32 s81, 0xfc00
	v_cmp_eq_u64_e64 s[16:17], 0, v[44:45]
	v_cmp_ne_u64_e64 s[18:19], 0, v[44:45]
	s_movk_i32 s82, 0x270e
	s_movk_i32 s83, 0x108
	v_mov_b32_e32 v47, 1
	v_mov_b32_e32 v16, 0
	v_accvgpr_write_b32 a34, v3
	v_accvgpr_write_b32 a32, v4
	v_cmp_gt_i32_e64 s[26:27], 1, v4
	s_xor_b64 s[56:57], s[28:29], -1
	v_pk_mov_b32 v[32:33], v[38:39], v[38:39] op_sel:[0,1]
	v_accvgpr_write_b32 a1, v41
	v_accvgpr_write_b32 a3, v53
	;; [unrolled: 1-line block ×17, first 2 shown]
	v_mov_b32_e32 v1, v21
	buffer_store_dword v0, off, s[0:3], s33 offset:100 ; 4-byte Folded Spill
	s_nop 0
	buffer_store_dword v1, off, s[0:3], s33 offset:104 ; 4-byte Folded Spill
	s_branch .LBB12_79
.LBB12_78:                              ;   in Loop: Header=BB12_79 Depth=1
	s_or_b64 exec, exec, s[30:31]
	v_add_co_u32_e32 v38, vcc, v38, v48
	v_addc_co_u32_e32 v39, vcc, 0, v39, vcc
	v_cmp_ge_u64_e32 vcc, v[38:39], v[52:53]
	s_or_b64 s[50:51], vcc, s[50:51]
	s_andn2_b64 exec, exec, s[50:51]
	s_cbranch_execz .LBB12_997
.LBB12_79:                              ; =>This Loop Header: Depth=1
                                        ;     Child Loop BB12_98 Depth 2
                                        ;     Child Loop BB12_133 Depth 2
	;; [unrolled: 1-line block ×9, first 2 shown]
                                        ;       Child Loop BB12_221 Depth 3
                                        ;     Child Loop BB12_231 Depth 2
                                        ;     Child Loop BB12_236 Depth 2
                                        ;       Child Loop BB12_237 Depth 3
                                        ;     Child Loop BB12_282 Depth 2
                                        ;     Child Loop BB12_389 Depth 2
	;; [unrolled: 1-line block ×26, first 2 shown]
                                        ;       Child Loop BB12_308 Depth 3
                                        ;     Child Loop BB12_318 Depth 2
                                        ;     Child Loop BB12_323 Depth 2
                                        ;       Child Loop BB12_324 Depth 3
                                        ;     Child Loop BB12_370 Depth 2
                                        ;     Child Loop BB12_408 Depth 2
	;; [unrolled: 1-line block ×17, first 2 shown]
	v_add_co_u32_e32 v2, vcc, v38, v40
	v_addc_co_u32_e32 v3, vcc, v39, v41, vcc
	v_sub_co_u32_e32 v4, vcc, v52, v38
	v_subb_co_u32_e32 v0, vcc, v53, v39, vcc
	v_cvt_f64_u32_e32 v[0:1], v0
	v_ldexp_f64 v[0:1], v[0:1], 32
	v_cvt_f64_u32_e32 v[10:11], v4
	v_add_f64 v[0:1], v[0:1], v[10:11]
	v_max_f64 v[10:11], v[24:25], v[24:25]
	v_min_f64 v[0:1], v[10:11], v[0:1]
	v_cvt_i32_f64_e32 v0, v[0:1]
	v_max_i32_e32 v14, 0, v0
	v_add_u32_e32 v1, 15, v14
	v_ashrrev_i32_e32 v4, 31, v1
	v_lshrrev_b32_e32 v4, 28, v4
	v_add_u32_e32 v1, v1, v4
	v_and_b32_e32 v1, -16, v1
	v_max_i32_e32 v42, s84, v1
	v_cmp_gt_i32_e64 s[30:31], 1, v0
	v_cmp_lt_i32_e64 s[34:35], 0, v0
	s_mov_b64 s[58:59], 0
	s_and_saveexec_b64 vcc, s[6:7]
	s_xor_b64 s[60:61], exec, vcc
	s_cbranch_execz .LBB12_87
; %bb.80:                               ;   in Loop: Header=BB12_79 Depth=1
	s_mov_b64 s[38:39], 0
	s_and_saveexec_b64 vcc, s[10:11]
	s_xor_b64 s[58:59], exec, vcc
	s_cbranch_execz .LBB12_566
; %bb.81:                               ;   in Loop: Header=BB12_79 Depth=1
	v_mov_b32_e32 v1, 0
	s_and_saveexec_b64 s[62:63], s[34:35]
	s_cbranch_execz .LBB12_424
; %bb.82:                               ;   in Loop: Header=BB12_79 Depth=1
	s_and_saveexec_b64 s[36:37], s[4:5]
	s_cbranch_execz .LBB12_84
; %bb.83:                               ;   in Loop: Header=BB12_79 Depth=1
	s_trap 2
	ds_read_b128 v[10:13], v0
	s_waitcnt lgkmcnt(0)
	v_add_co_u32_e32 v0, vcc, v10, v2
	v_addc_co_u32_e32 v1, vcc, v11, v3, vcc
	ds_write_b64 v0, v[0:1]
	v_add_co_u32_e32 v0, vcc, v12, v2
	v_addc_co_u32_e32 v1, vcc, v13, v3, vcc
	v_cmp_ne_u64_e32 vcc, 0, v[12:13]
	v_cndmask_b32_e32 v1, 0, v1, vcc
	v_cndmask_b32_e32 v0, 0, v0, vcc
	ds_write_b64 v0, v[0:1]
.LBB12_84:                              ;   in Loop: Header=BB12_79 Depth=1
	s_or_b64 exec, exec, s[36:37]
	v_and_b32_e32 v0, 12, v46
	v_cmp_ne_u32_e32 vcc, 0, v0
	s_mov_b64 s[38:39], -1
	s_and_saveexec_b64 s[36:37], vcc
	s_cbranch_execz .LBB12_111
; %bb.85:                               ;   in Loop: Header=BB12_79 Depth=1
	v_and_b32_e32 v2, 8, v46
	v_add_co_u32_e32 v0, vcc, v34, v2
	v_addc_co_u32_e32 v1, vcc, 0, v35, vcc
	v_add_co_u32_e32 v12, vcc, 1, v8
	v_addc_co_u32_e32 v13, vcc, 0, v9, vcc
	v_cmp_lt_u64_e32 vcc, v[0:1], v[12:13]
	v_mov_b32_e32 v0, 1
	s_and_saveexec_b64 s[38:39], vcc
	s_cbranch_execz .LBB12_110
; %bb.86:                               ;   in Loop: Header=BB12_79 Depth=1
	s_mov_b64 s[40:41], 0
	v_mov_b32_e32 v0, 0
                                        ; implicit-def: $sgpr42_sgpr43
	s_branch .LBB12_98
.LBB12_87:                              ;   in Loop: Header=BB12_79 Depth=1
	s_andn2_saveexec_b64 s[60:61], s[60:61]
	s_cbranch_execz .LBB12_995
.LBB12_88:                              ;   in Loop: Header=BB12_79 Depth=1
	s_mov_b64 s[38:39], 0
	s_mov_b64 s[36:37], s[58:59]
	s_and_saveexec_b64 vcc, s[54:55]
	s_xor_b64 s[62:63], exec, vcc
	s_cbranch_execz .LBB12_615
; %bb.89:                               ;   in Loop: Header=BB12_79 Depth=1
	v_mov_b32_e32 v1, 0
	s_and_saveexec_b64 s[64:65], s[34:35]
	s_cbranch_execz .LBB12_478
; %bb.90:                               ;   in Loop: Header=BB12_79 Depth=1
	s_and_saveexec_b64 s[36:37], s[4:5]
	s_cbranch_execz .LBB12_92
; %bb.91:                               ;   in Loop: Header=BB12_79 Depth=1
	s_trap 2
	ds_read2_b64 v[10:13], v0 offset1:1
	ds_read_b64 v[0:1], v0
	s_waitcnt lgkmcnt(0)
	v_add_co_u32_e32 v10, vcc, v10, v2
	v_addc_co_u32_e32 v11, vcc, v11, v3, vcc
	ds_write_b64 v0, v[10:11]
	v_add_co_u32_e32 v10, vcc, v12, v2
	v_addc_co_u32_e32 v11, vcc, v13, v3, vcc
	v_add_co_u32_e32 v2, vcc, v0, v2
	v_addc_co_u32_e32 v3, vcc, v1, v3, vcc
	v_cmp_ne_u64_e32 vcc, 0, v[0:1]
	ds_write_b64 v0, v[10:11]
	v_cndmask_b32_e32 v1, 0, v3, vcc
	v_cndmask_b32_e32 v0, 0, v2, vcc
	ds_write_b64 v0, v[0:1]
.LBB12_92:                              ;   in Loop: Header=BB12_79 Depth=1
	s_or_b64 exec, exec, s[36:37]
	v_and_b32_e32 v0, 8, v46
	v_cmp_ne_u32_e32 vcc, 0, v0
	s_mov_b64 s[38:39], -1
	s_and_saveexec_b64 s[36:37], vcc
	s_cbranch_execz .LBB12_139
; %bb.93:                               ;   in Loop: Header=BB12_79 Depth=1
	v_add_co_u32_e32 v0, vcc, 8, v34
	v_addc_co_u32_e32 v1, vcc, 0, v35, vcc
	v_add_co_u32_e32 v2, vcc, 1, v8
	v_addc_co_u32_e32 v3, vcc, 0, v9, vcc
	v_cmp_lt_u64_e32 vcc, v[0:1], v[2:3]
	v_mov_b32_e32 v0, 1
	s_and_saveexec_b64 s[38:39], vcc
	s_cbranch_execz .LBB12_138
; %bb.94:                               ;   in Loop: Header=BB12_79 Depth=1
	s_mov_b64 s[40:41], 0
	v_mov_b32_e32 v0, 0
                                        ; implicit-def: $sgpr42_sgpr43
	s_branch .LBB12_105
.LBB12_95:                              ;   in Loop: Header=BB12_98 Depth=2
	s_or_b64 exec, exec, s[70:71]
	v_mov_b32_e32 v1, 0
	s_orn2_b64 s[68:69], s[68:69], exec
.LBB12_96:                              ;   in Loop: Header=BB12_98 Depth=2
	s_or_b64 exec, exec, s[66:67]
	s_andn2_b64 vcc, s[42:43], exec
	s_and_b64 s[42:43], s[68:69], exec
	s_or_b64 s[42:43], vcc, s[42:43]
	v_mov_b32_e32 v0, v1
.LBB12_97:                              ;   in Loop: Header=BB12_98 Depth=2
	s_or_b64 exec, exec, s[64:65]
	s_waitcnt vmcnt(0) lgkmcnt(0)
	v_add_co_u32_e32 v4, vcc, v34, v2
	v_addc_co_u32_e32 v5, vcc, 0, v35, vcc
	v_cmp_ge_u64_e32 vcc, v[4:5], v[12:13]
	s_xor_b64 s[64:65], s[42:43], -1
	s_or_b64 vcc, s[64:65], vcc
	s_and_b64 vcc, exec, vcc
	s_or_b64 s[40:41], vcc, s[40:41]
	s_andn2_b64 exec, exec, s[40:41]
	s_cbranch_execz .LBB12_109
.LBB12_98:                              ;   Parent Loop BB12_79 Depth=1
                                        ; =>  This Inner Loop Header: Depth=2
	s_sleep 1
	flat_load_dwordx2 v[34:35], v[22:23] glc
	v_and_b32_e32 v1, 64, v46
	v_cmp_eq_u32_e32 vcc, 0, v1
	s_andn2_b64 s[42:43], s[42:43], exec
	s_and_saveexec_b64 s[64:65], vcc
	s_cbranch_execz .LBB12_97
; %bb.99:                               ;   in Loop: Header=BB12_98 Depth=2
	v_add_u32_e32 v1, 1, v0
	v_cmp_lt_i32_e32 vcc, s82, v0
	s_mov_b64 s[68:69], -1
	s_and_saveexec_b64 s[66:67], vcc
	s_cbranch_execz .LBB12_96
; %bb.100:                              ;   in Loop: Header=BB12_98 Depth=2
	s_trap 2
	ds_read_b64 v[0:1], v0
	s_waitcnt vmcnt(0) lgkmcnt(0)
	flat_load_dword v0, v[0:1] glc
	s_waitcnt vmcnt(0) lgkmcnt(0)
	buffer_invl2
	buffer_wbinvl1_vol
	v_cmp_ne_u32_e32 vcc, 0, v0
	s_and_saveexec_b64 s[70:71], vcc
	s_cbranch_execz .LBB12_95
; %bb.101:                              ;   in Loop: Header=BB12_98 Depth=2
	v_or_b32_e32 v46, 64, v46
	s_xor_b64 s[68:69], exec, -1
	ds_write_b32 v0, v0
	s_trap 2
	s_branch .LBB12_95
.LBB12_102:                             ;   in Loop: Header=BB12_105 Depth=2
	s_or_b64 exec, exec, s[72:73]
	v_mov_b32_e32 v1, 0
	s_orn2_b64 s[70:71], s[70:71], exec
.LBB12_103:                             ;   in Loop: Header=BB12_105 Depth=2
	s_or_b64 exec, exec, s[68:69]
	s_andn2_b64 vcc, s[42:43], exec
	s_and_b64 s[42:43], s[70:71], exec
	s_or_b64 s[42:43], vcc, s[42:43]
	v_mov_b32_e32 v0, v1
.LBB12_104:                             ;   in Loop: Header=BB12_105 Depth=2
	s_or_b64 exec, exec, s[66:67]
	s_waitcnt vmcnt(0) lgkmcnt(0)
	v_add_co_u32_e32 v10, vcc, 8, v34
	v_addc_co_u32_e32 v11, vcc, 0, v35, vcc
	v_cmp_ge_u64_e32 vcc, v[10:11], v[2:3]
	s_xor_b64 s[66:67], s[42:43], -1
	s_or_b64 vcc, s[66:67], vcc
	s_and_b64 vcc, exec, vcc
	s_or_b64 s[40:41], vcc, s[40:41]
	s_andn2_b64 exec, exec, s[40:41]
	s_cbranch_execz .LBB12_137
.LBB12_105:                             ;   Parent Loop BB12_79 Depth=1
                                        ; =>  This Inner Loop Header: Depth=2
	s_sleep 1
	flat_load_dwordx2 v[34:35], v[22:23] glc
	v_and_b32_e32 v1, 64, v46
	v_cmp_eq_u32_e32 vcc, 0, v1
	s_andn2_b64 s[42:43], s[42:43], exec
	s_and_saveexec_b64 s[66:67], vcc
	s_cbranch_execz .LBB12_104
; %bb.106:                              ;   in Loop: Header=BB12_105 Depth=2
	v_add_u32_e32 v1, 1, v0
	v_cmp_lt_i32_e32 vcc, s82, v0
	s_mov_b64 s[70:71], -1
	s_and_saveexec_b64 s[68:69], vcc
	s_cbranch_execz .LBB12_103
; %bb.107:                              ;   in Loop: Header=BB12_105 Depth=2
	s_trap 2
	ds_read_b64 v[0:1], v0
	s_waitcnt vmcnt(0) lgkmcnt(0)
	flat_load_dword v0, v[0:1] glc
	s_waitcnt vmcnt(0) lgkmcnt(0)
	buffer_invl2
	buffer_wbinvl1_vol
	v_cmp_ne_u32_e32 vcc, 0, v0
	s_and_saveexec_b64 s[72:73], vcc
	s_cbranch_execz .LBB12_102
; %bb.108:                              ;   in Loop: Header=BB12_105 Depth=2
	v_or_b32_e32 v46, 64, v46
	s_xor_b64 s[70:71], exec, -1
	ds_write_b32 v0, v0
	s_trap 2
	s_branch .LBB12_102
.LBB12_109:                             ;   in Loop: Header=BB12_79 Depth=1
	s_or_b64 exec, exec, s[40:41]
	v_and_b32_e32 v0, 12, v46
.LBB12_110:                             ;   in Loop: Header=BB12_79 Depth=1
	s_or_b64 exec, exec, s[38:39]
	v_cmp_eq_u32_e32 vcc, 0, v0
	s_orn2_b64 s[38:39], vcc, exec
	;;#ASMSTART
	s_wakeup
	;;#ASMEND
.LBB12_111:                             ;   in Loop: Header=BB12_79 Depth=1
	s_or_b64 exec, exec, s[36:37]
	s_xor_b64 vcc, s[38:39], -1
	v_min_i32_e32 v42, v42, v14
	s_and_saveexec_b64 s[38:39], vcc
	s_cbranch_execz .LBB12_125
; %bb.112:                              ;   in Loop: Header=BB12_79 Depth=1
	v_and_b32_e32 v0, 0x108, v46
	v_cmp_ne_u32_e32 vcc, s83, v0
                                        ; implicit-def: $vgpr2_vgpr3
	s_and_saveexec_b64 s[36:37], vcc
	s_xor_b64 vcc, exec, s[36:37]
; %bb.113:                              ;   in Loop: Header=BB12_79 Depth=1
	v_and_b32_e32 v2, 7, v8
	v_mov_b32_e32 v3, v16
; %bb.114:                              ;   in Loop: Header=BB12_79 Depth=1
	s_andn2_saveexec_b64 vcc, vcc
	s_cbranch_execz .LBB12_116
; %bb.115:                              ;   in Loop: Header=BB12_79 Depth=1
	v_and_b32_e32 v2, 7, v8
	v_mad_u64_u32 v[0:1], s[36:37], v2, 24, v[6:7]
	v_ashrrev_i32_e32 v43, 31, v42
	v_mov_b32_e32 v3, v16
	flat_store_dwordx2 v[0:1], v[42:43] offset:8
	v_accvgpr_read_b32 v43, a33
.LBB12_116:                             ;   in Loop: Header=BB12_79 Depth=1
	s_or_b64 exec, exec, vcc
	v_and_b32_e32 v0, 0x100, v46
	v_cmp_ne_u32_e32 vcc, 0, v0
	s_mov_b64 s[36:37], -1
                                        ; implicit-def: $vgpr12_vgpr13
	s_and_saveexec_b64 s[40:41], vcc
	s_cbranch_execz .LBB12_120
; %bb.117:                              ;   in Loop: Header=BB12_79 Depth=1
	v_mov_b32_e32 v4, v14
	v_mad_u64_u32 v[14:15], vcc, v2, 24, v[6:7]
	v_mov_b32_e32 v0, v15
	v_mad_u64_u32 v[0:1], vcc, v3, 24, v[0:1]
	v_mov_b32_e32 v15, v0
	flat_load_dword v0, v[14:15]
                                        ; implicit-def: $vgpr12_vgpr13
	s_waitcnt vmcnt(0) lgkmcnt(0)
	v_cmp_ne_u32_e32 vcc, 1, v0
	v_cmp_eq_u32_e64 s[36:37], 1, v0
	s_and_saveexec_b64 s[42:43], s[36:37]
	s_cbranch_execz .LBB12_119
; %bb.118:                              ;   in Loop: Header=BB12_79 Depth=1
	flat_load_dword v12, v[14:15] offset:4 glc
	s_waitcnt vmcnt(0) lgkmcnt(0)
	v_ashrrev_i32_e32 v13, 31, v12
.LBB12_119:                             ;   in Loop: Header=BB12_79 Depth=1
	s_or_b64 exec, exec, s[42:43]
	s_orn2_b64 s[36:37], vcc, exec
	v_mov_b32_e32 v14, v4
.LBB12_120:                             ;   in Loop: Header=BB12_79 Depth=1
	s_or_b64 exec, exec, s[40:41]
	s_and_saveexec_b64 vcc, s[36:37]
; %bb.121:                              ;   in Loop: Header=BB12_79 Depth=1
	v_accvgpr_read_b32 v1, a13
	v_mul_lo_u32 v0, v3, v30
	v_mul_lo_u32 v1, v2, v1
	v_mad_u64_u32 v[12:13], s[36:37], v2, v30, 0
	v_add3_u32 v13, v13, v1, v0
; %bb.122:                              ;   in Loop: Header=BB12_79 Depth=1
	s_or_b64 exec, exec, vcc
	v_add_co_u32_e32 v0, vcc, v56, v12
	v_addc_co_u32_e32 v1, vcc, v57, v13, vcc
	s_trap 2
	ds_write_b64 v0, v[0:1]
	v_and_b32_e32 v0, 0x2000, v46
	v_cmp_ne_u32_e32 vcc, 0, v0
	s_and_saveexec_b64 s[36:37], vcc
	s_cbranch_execz .LBB12_124
; %bb.123:                              ;   in Loop: Header=BB12_79 Depth=1
	ds_read_b64 v[0:1], v0 offset:584
	s_waitcnt lgkmcnt(0)
	v_add_co_u32_e32 v0, vcc, 1, v0
	v_addc_co_u32_e32 v1, vcc, 0, v1, vcc
	ds_write_b64 v0, v[0:1] offset:584
.LBB12_124:                             ;   in Loop: Header=BB12_79 Depth=1
	s_or_b64 exec, exec, s[36:37]
	v_add_co_u32_e32 v8, vcc, 1, v8
	v_addc_co_u32_e32 v9, vcc, 0, v9, vcc
.LBB12_125:                             ;   in Loop: Header=BB12_79 Depth=1
	s_or_b64 exec, exec, s[38:39]
	s_and_saveexec_b64 s[36:37], s[14:15]
	s_cbranch_execz .LBB12_168
; %bb.126:                              ;   in Loop: Header=BB12_79 Depth=1
	s_and_saveexec_b64 vcc, s[52:53]
	s_xor_b64 s[38:39], exec, vcc
	s_cbranch_execz .LBB12_165
; %bb.127:                              ;   in Loop: Header=BB12_79 Depth=1
	s_and_saveexec_b64 s[40:41], s[20:21]
	s_cbranch_execz .LBB12_164
; %bb.128:                              ;   in Loop: Header=BB12_79 Depth=1
	s_mov_b64 s[64:65], exec
	v_mbcnt_lo_u32_b32 v0, s64, 0
	v_mbcnt_hi_u32_b32 v0, s65, v0
	v_cmp_eq_u32_e32 vcc, 0, v0
	s_waitcnt vmcnt(0) lgkmcnt(0)
	buffer_wbinvl1_vol
	s_and_saveexec_b64 s[42:43], vcc
	s_cbranch_execz .LBB12_130
; %bb.129:                              ;   in Loop: Header=BB12_79 Depth=1
	s_bcnt1_i32_b64 vcc_lo, s[64:65]
	v_mov_b32_e32 v0, vcc_lo
	v_mov_b32_e32 v1, v16
	ds_add_u64 v0, v[0:1]
	s_trap 2
.LBB12_130:                             ;   in Loop: Header=BB12_79 Depth=1
	s_or_b64 exec, exec, s[42:43]
	s_trap 2
	ds_read_b64 v[0:1], v0
	v_add_co_u32_e32 v32, vcc, v32, v36
	v_addc_co_u32_e32 v33, vcc, 0, v33, vcc
	s_waitcnt lgkmcnt(0)
	v_cmp_lt_u64_e32 vcc, v[0:1], v[32:33]
	s_and_saveexec_b64 s[42:43], vcc
	s_cbranch_execz .LBB12_163
; %bb.131:                              ;   in Loop: Header=BB12_79 Depth=1
	s_mov_b32 s74, 0
	s_mov_b64 s[64:65], 0
                                        ; implicit-def: $sgpr66_sgpr67
                                        ; implicit-def: $sgpr68_sgpr69
	s_branch .LBB12_133
.LBB12_132:                             ;   in Loop: Header=BB12_133 Depth=2
	s_or_b64 exec, exec, s[72:73]
	s_and_b64 vcc, exec, vcc
	s_or_b64 s[64:65], vcc, s[64:65]
	s_andn2_b64 vcc, s[66:67], exec
	s_and_b64 s[66:67], s[68:69], exec
	s_or_b64 s[66:67], vcc, s[66:67]
	s_andn2_b64 exec, exec, s[64:65]
	s_cbranch_execz .LBB12_161
.LBB12_133:                             ;   Parent Loop BB12_79 Depth=1
                                        ; =>  This Inner Loop Header: Depth=2
	s_add_i32 s74, s74, 1
	s_cmpk_lg_i32 s74, 0x2710
	s_cselect_b64 s[70:71], -1, 0
	s_and_b64 vcc, exec, s[70:71]
                                        ; implicit-def: $sgpr72_sgpr73
	s_cbranch_vccnz .LBB12_135
; %bb.134:                              ;   in Loop: Header=BB12_133 Depth=2
	s_trap 2
	ds_read_b64 v[0:1], v0
	s_andn2_b64 s[70:71], s[70:71], exec
	s_mov_b32 s74, 0
	s_mov_b64 s[72:73], -1
	s_waitcnt lgkmcnt(0)
	flat_load_dword v0, v[0:1] glc
	s_waitcnt vmcnt(0) lgkmcnt(0)
	buffer_invl2
	buffer_wbinvl1_vol
	v_cmp_eq_u32_e32 vcc, 0, v0
	s_and_b64 vcc, vcc, exec
	s_or_b64 s[70:71], s[70:71], vcc
.LBB12_135:                             ;   in Loop: Header=BB12_133 Depth=2
	s_andn2_b64 s[68:69], s[68:69], exec
	s_and_b64 s[72:73], s[72:73], exec
	s_mov_b64 vcc, -1
	s_or_b64 s[68:69], s[68:69], s[72:73]
	s_and_saveexec_b64 s[72:73], s[70:71]
	s_cbranch_execz .LBB12_132
; %bb.136:                              ;   in Loop: Header=BB12_133 Depth=2
	s_sleep 1
	s_trap 2
	ds_read_b64 v[0:1], v0
	s_andn2_b64 s[68:69], s[68:69], exec
	s_waitcnt lgkmcnt(0)
	v_cmp_ge_u64_e32 vcc, v[0:1], v[32:33]
	s_orn2_b64 vcc, vcc, exec
	s_branch .LBB12_132
.LBB12_137:                             ;   in Loop: Header=BB12_79 Depth=1
	s_or_b64 exec, exec, s[40:41]
	v_and_b32_e32 v0, 8, v46
.LBB12_138:                             ;   in Loop: Header=BB12_79 Depth=1
	s_or_b64 exec, exec, s[38:39]
	v_cmp_eq_u32_e32 vcc, 0, v0
	s_orn2_b64 s[38:39], vcc, exec
	;;#ASMSTART
	s_wakeup
	;;#ASMEND
.LBB12_139:                             ;   in Loop: Header=BB12_79 Depth=1
	s_or_b64 exec, exec, s[36:37]
	s_xor_b64 vcc, s[38:39], -1
	v_min_i32_e32 v42, v42, v14
	s_and_saveexec_b64 s[38:39], vcc
	s_cbranch_execz .LBB12_149
; %bb.140:                              ;   in Loop: Header=BB12_79 Depth=1
	v_and_b32_e32 v0, 0x100, v46
	v_cmp_ne_u32_e32 vcc, 0, v0
	v_and_b32_e32 v0, 7, v8
	s_mov_b64 s[36:37], -1
                                        ; implicit-def: $vgpr2_vgpr3
	s_and_saveexec_b64 s[40:41], vcc
	s_cbranch_execz .LBB12_144
; %bb.141:                              ;   in Loop: Header=BB12_79 Depth=1
	v_mad_u64_u32 v[12:13], vcc, v0, 24, v[6:7]
	flat_load_dword v1, v[12:13]
	v_ashrrev_i32_e32 v43, 31, v42
	flat_store_dwordx2 v[12:13], v[42:43] offset:8
                                        ; implicit-def: $vgpr2_vgpr3
	s_waitcnt vmcnt(0) lgkmcnt(0)
	v_cmp_ne_u32_e32 vcc, 1, v1
	v_cmp_eq_u32_e64 s[36:37], 1, v1
	s_and_saveexec_b64 s[42:43], s[36:37]
	s_cbranch_execz .LBB12_143
; %bb.142:                              ;   in Loop: Header=BB12_79 Depth=1
	flat_load_dword v2, v[12:13] offset:4 glc
	s_waitcnt vmcnt(0) lgkmcnt(0)
	v_ashrrev_i32_e32 v3, 31, v2
.LBB12_143:                             ;   in Loop: Header=BB12_79 Depth=1
	s_or_b64 exec, exec, s[42:43]
	s_orn2_b64 s[36:37], vcc, exec
	v_accvgpr_read_b32 v43, a33
.LBB12_144:                             ;   in Loop: Header=BB12_79 Depth=1
	s_or_b64 exec, exec, s[40:41]
	s_and_saveexec_b64 vcc, s[36:37]
; %bb.145:                              ;   in Loop: Header=BB12_79 Depth=1
	v_mad_i64_i32 v[2:3], s[36:37], v0, v30, 0
; %bb.146:                              ;   in Loop: Header=BB12_79 Depth=1
	s_or_b64 exec, exec, vcc
	v_add_co_u32_e32 v0, vcc, v56, v2
	v_addc_co_u32_e32 v1, vcc, v57, v3, vcc
	ds_write_b64 v0, v[0:1] offset:792
	v_and_b32_e32 v0, 0x2000, v46
	v_cmp_ne_u32_e32 vcc, 0, v0
	s_and_saveexec_b64 s[36:37], vcc
	s_cbranch_execz .LBB12_148
; %bb.147:                              ;   in Loop: Header=BB12_79 Depth=1
	ds_read_b64 v[0:1], v0 offset:584
	s_waitcnt lgkmcnt(0)
	v_add_co_u32_e32 v0, vcc, 1, v0
	v_addc_co_u32_e32 v1, vcc, 0, v1, vcc
	ds_write_b64 v0, v[0:1] offset:584
.LBB12_148:                             ;   in Loop: Header=BB12_79 Depth=1
	s_or_b64 exec, exec, s[36:37]
	v_add_co_u32_e32 v8, vcc, 1, v8
	v_addc_co_u32_e32 v9, vcc, 0, v9, vcc
.LBB12_149:                             ;   in Loop: Header=BB12_79 Depth=1
	s_or_b64 exec, exec, s[38:39]
	s_and_saveexec_b64 s[36:37], s[14:15]
	s_cbranch_execz .LBB12_187
; %bb.150:                              ;   in Loop: Header=BB12_79 Depth=1
	s_and_saveexec_b64 vcc, s[52:53]
	s_xor_b64 s[38:39], exec, vcc
	s_cbranch_execz .LBB12_184
; %bb.151:                              ;   in Loop: Header=BB12_79 Depth=1
	s_and_saveexec_b64 s[40:41], s[20:21]
	s_cbranch_execz .LBB12_183
; %bb.152:                              ;   in Loop: Header=BB12_79 Depth=1
	s_mov_b64 s[66:67], exec
	v_mbcnt_lo_u32_b32 v0, s66, 0
	v_mbcnt_hi_u32_b32 v0, s67, v0
	v_cmp_eq_u32_e32 vcc, 0, v0
	s_waitcnt vmcnt(0) lgkmcnt(0)
	buffer_wbinvl1_vol
	s_and_saveexec_b64 s[42:43], vcc
	s_cbranch_execz .LBB12_154
; %bb.153:                              ;   in Loop: Header=BB12_79 Depth=1
	s_bcnt1_i32_b64 vcc_lo, s[66:67]
	v_mov_b32_e32 v0, vcc_lo
	v_mov_b32_e32 v1, v16
	ds_add_u64 v0, v[0:1]
	s_trap 2
.LBB12_154:                             ;   in Loop: Header=BB12_79 Depth=1
	s_or_b64 exec, exec, s[42:43]
	s_trap 2
	ds_read_b64 v[0:1], v0
	v_add_co_u32_e32 v32, vcc, v32, v36
	v_addc_co_u32_e32 v33, vcc, 0, v33, vcc
	s_waitcnt lgkmcnt(0)
	v_cmp_lt_u64_e32 vcc, v[0:1], v[32:33]
	s_and_saveexec_b64 s[42:43], vcc
	s_cbranch_execz .LBB12_182
; %bb.155:                              ;   in Loop: Header=BB12_79 Depth=1
	s_mov_b32 s76, 0
	s_mov_b64 s[66:67], 0
                                        ; implicit-def: $sgpr68_sgpr69
                                        ; implicit-def: $sgpr70_sgpr71
	s_branch .LBB12_157
.LBB12_156:                             ;   in Loop: Header=BB12_157 Depth=2
	s_or_b64 exec, exec, s[74:75]
	s_and_b64 vcc, exec, vcc
	s_or_b64 s[66:67], vcc, s[66:67]
	s_andn2_b64 vcc, s[68:69], exec
	s_and_b64 s[68:69], s[70:71], exec
	s_or_b64 s[68:69], vcc, s[68:69]
	s_andn2_b64 exec, exec, s[66:67]
	s_cbranch_execz .LBB12_180
.LBB12_157:                             ;   Parent Loop BB12_79 Depth=1
                                        ; =>  This Inner Loop Header: Depth=2
	s_add_i32 s76, s76, 1
	s_cmpk_lg_i32 s76, 0x2710
	s_cselect_b64 s[72:73], -1, 0
	s_and_b64 vcc, exec, s[72:73]
                                        ; implicit-def: $sgpr74_sgpr75
	s_cbranch_vccnz .LBB12_159
; %bb.158:                              ;   in Loop: Header=BB12_157 Depth=2
	s_trap 2
	ds_read_b64 v[0:1], v0
	s_andn2_b64 s[72:73], s[72:73], exec
	s_mov_b32 s76, 0
	s_mov_b64 s[74:75], -1
	s_waitcnt lgkmcnt(0)
	flat_load_dword v0, v[0:1] glc
	s_waitcnt vmcnt(0) lgkmcnt(0)
	buffer_invl2
	buffer_wbinvl1_vol
	v_cmp_eq_u32_e32 vcc, 0, v0
	s_and_b64 vcc, vcc, exec
	s_or_b64 s[72:73], s[72:73], vcc
.LBB12_159:                             ;   in Loop: Header=BB12_157 Depth=2
	s_andn2_b64 s[70:71], s[70:71], exec
	s_and_b64 s[74:75], s[74:75], exec
	s_mov_b64 vcc, -1
	s_or_b64 s[70:71], s[70:71], s[74:75]
	s_and_saveexec_b64 s[74:75], s[72:73]
	s_cbranch_execz .LBB12_156
; %bb.160:                              ;   in Loop: Header=BB12_157 Depth=2
	s_sleep 1
	s_trap 2
	ds_read_b64 v[0:1], v0
	s_andn2_b64 s[70:71], s[70:71], exec
	s_waitcnt lgkmcnt(0)
	v_cmp_ge_u64_e32 vcc, v[0:1], v[32:33]
	s_orn2_b64 vcc, vcc, exec
	s_branch .LBB12_156
.LBB12_161:                             ;   in Loop: Header=BB12_79 Depth=1
	s_or_b64 exec, exec, s[64:65]
	s_and_saveexec_b64 vcc, s[66:67]
	s_xor_b64 vcc, exec, vcc
	s_cbranch_execz .LBB12_163
; %bb.162:                              ;   in Loop: Header=BB12_79 Depth=1
	ds_write_b32 v0, v47
	s_trap 2
.LBB12_163:                             ;   in Loop: Header=BB12_79 Depth=1
	s_or_b64 exec, exec, s[42:43]
	;;#ASMSTART
	s_wakeup
	;;#ASMEND
.LBB12_164:                             ;   in Loop: Header=BB12_79 Depth=1
	s_or_b64 exec, exec, s[40:41]
.LBB12_165:                             ;   in Loop: Header=BB12_79 Depth=1
	s_andn2_saveexec_b64 vcc, s[38:39]
	s_cbranch_execz .LBB12_167
; %bb.166:                              ;   in Loop: Header=BB12_79 Depth=1
	s_waitcnt vmcnt(0) lgkmcnt(0)
	buffer_wbinvl1_vol
	s_barrier
.LBB12_167:                             ;   in Loop: Header=BB12_79 Depth=1
	s_or_b64 exec, exec, vcc
.LBB12_168:                             ;   in Loop: Header=BB12_79 Depth=1
	s_or_b64 exec, exec, s[36:37]
	s_trap 2
	ds_read_b32 v1, v0
	v_and_b32_e32 v0, 0x4000, v46
	v_cmp_ne_u32_e32 vcc, 0, v0
	s_xor_b64 s[36:37], s[12:13], -1
	s_and_b64 vcc, s[36:37], vcc
	s_and_saveexec_b64 s[36:37], vcc
	s_cbranch_execz .LBB12_206
; %bb.169:                              ;   in Loop: Header=BB12_79 Depth=1
	s_and_saveexec_b64 vcc, s[52:53]
	s_xor_b64 s[38:39], exec, vcc
	s_cbranch_execz .LBB12_203
; %bb.170:                              ;   in Loop: Header=BB12_79 Depth=1
	s_and_saveexec_b64 s[40:41], s[20:21]
	s_cbranch_execz .LBB12_202
; %bb.171:                              ;   in Loop: Header=BB12_79 Depth=1
	s_mov_b64 s[64:65], exec
	v_mbcnt_lo_u32_b32 v0, s64, 0
	v_mbcnt_hi_u32_b32 v0, s65, v0
	v_cmp_eq_u32_e32 vcc, 0, v0
	s_waitcnt vmcnt(0) lgkmcnt(0)
	buffer_wbinvl1_vol
	s_and_saveexec_b64 s[42:43], vcc
	s_cbranch_execz .LBB12_173
; %bb.172:                              ;   in Loop: Header=BB12_79 Depth=1
	s_bcnt1_i32_b64 vcc_lo, s[64:65]
	v_mov_b32_e32 v2, vcc_lo
	v_mov_b32_e32 v3, v16
	ds_add_u64 v0, v[2:3]
	s_trap 2
.LBB12_173:                             ;   in Loop: Header=BB12_79 Depth=1
	s_or_b64 exec, exec, s[42:43]
	s_trap 2
	ds_read_b64 v[2:3], v0
	v_add_co_u32_e32 v32, vcc, v32, v36
	v_addc_co_u32_e32 v33, vcc, 0, v33, vcc
	s_waitcnt lgkmcnt(0)
	v_cmp_lt_u64_e32 vcc, v[2:3], v[32:33]
	s_and_saveexec_b64 s[42:43], vcc
	s_cbranch_execz .LBB12_201
; %bb.174:                              ;   in Loop: Header=BB12_79 Depth=1
	s_mov_b32 s74, 0
	s_mov_b64 s[64:65], 0
                                        ; implicit-def: $sgpr66_sgpr67
                                        ; implicit-def: $sgpr68_sgpr69
	s_branch .LBB12_176
.LBB12_175:                             ;   in Loop: Header=BB12_176 Depth=2
	s_or_b64 exec, exec, s[72:73]
	s_and_b64 vcc, exec, vcc
	s_or_b64 s[64:65], vcc, s[64:65]
	s_andn2_b64 vcc, s[66:67], exec
	s_and_b64 s[66:67], s[68:69], exec
	s_or_b64 s[66:67], vcc, s[66:67]
	s_andn2_b64 exec, exec, s[64:65]
	s_cbranch_execz .LBB12_199
.LBB12_176:                             ;   Parent Loop BB12_79 Depth=1
                                        ; =>  This Inner Loop Header: Depth=2
	s_add_i32 s74, s74, 1
	s_cmpk_lg_i32 s74, 0x2710
	s_cselect_b64 s[70:71], -1, 0
	s_and_b64 vcc, exec, s[70:71]
                                        ; implicit-def: $sgpr72_sgpr73
	s_cbranch_vccnz .LBB12_178
; %bb.177:                              ;   in Loop: Header=BB12_176 Depth=2
	s_trap 2
	ds_read_b64 v[2:3], v0
	s_andn2_b64 s[70:71], s[70:71], exec
	s_mov_b32 s74, 0
	s_mov_b64 s[72:73], -1
	s_waitcnt lgkmcnt(0)
	flat_load_dword v0, v[2:3] glc
	s_waitcnt vmcnt(0) lgkmcnt(0)
	buffer_invl2
	buffer_wbinvl1_vol
	v_cmp_eq_u32_e32 vcc, 0, v0
	s_and_b64 vcc, vcc, exec
	s_or_b64 s[70:71], s[70:71], vcc
.LBB12_178:                             ;   in Loop: Header=BB12_176 Depth=2
	s_andn2_b64 s[68:69], s[68:69], exec
	s_and_b64 s[72:73], s[72:73], exec
	s_mov_b64 vcc, -1
	s_or_b64 s[68:69], s[68:69], s[72:73]
	s_and_saveexec_b64 s[72:73], s[70:71]
	s_cbranch_execz .LBB12_175
; %bb.179:                              ;   in Loop: Header=BB12_176 Depth=2
	s_sleep 1
	s_trap 2
	ds_read_b64 v[2:3], v0
	s_andn2_b64 s[68:69], s[68:69], exec
	s_waitcnt lgkmcnt(0)
	v_cmp_ge_u64_e32 vcc, v[2:3], v[32:33]
	s_orn2_b64 vcc, vcc, exec
	s_branch .LBB12_175
.LBB12_180:                             ;   in Loop: Header=BB12_79 Depth=1
	s_or_b64 exec, exec, s[66:67]
	s_and_saveexec_b64 vcc, s[68:69]
	s_xor_b64 vcc, exec, vcc
	s_cbranch_execz .LBB12_182
; %bb.181:                              ;   in Loop: Header=BB12_79 Depth=1
	ds_write_b32 v0, v47
	s_trap 2
.LBB12_182:                             ;   in Loop: Header=BB12_79 Depth=1
	s_or_b64 exec, exec, s[42:43]
	;;#ASMSTART
	s_wakeup
	;;#ASMEND
.LBB12_183:                             ;   in Loop: Header=BB12_79 Depth=1
	s_or_b64 exec, exec, s[40:41]
.LBB12_184:                             ;   in Loop: Header=BB12_79 Depth=1
	s_andn2_saveexec_b64 vcc, s[38:39]
	s_cbranch_execz .LBB12_186
; %bb.185:                              ;   in Loop: Header=BB12_79 Depth=1
	s_waitcnt vmcnt(0) lgkmcnt(0)
	buffer_wbinvl1_vol
	s_barrier
.LBB12_186:                             ;   in Loop: Header=BB12_79 Depth=1
	s_or_b64 exec, exec, vcc
.LBB12_187:                             ;   in Loop: Header=BB12_79 Depth=1
	s_or_b64 exec, exec, s[36:37]
	s_trap 2
	ds_read_b32 v1, v0
	v_and_b32_e32 v0, 0x4000, v46
	v_cmp_ne_u32_e32 vcc, 0, v0
	s_xor_b64 s[36:37], s[12:13], -1
	s_and_b64 vcc, s[36:37], vcc
	s_and_saveexec_b64 s[36:37], vcc
	s_cbranch_execz .LBB12_293
; %bb.188:                              ;   in Loop: Header=BB12_79 Depth=1
	s_and_saveexec_b64 vcc, s[52:53]
	s_xor_b64 s[38:39], exec, vcc
	s_cbranch_execz .LBB12_290
; %bb.189:                              ;   in Loop: Header=BB12_79 Depth=1
	s_and_saveexec_b64 s[40:41], s[20:21]
	s_cbranch_execz .LBB12_289
; %bb.190:                              ;   in Loop: Header=BB12_79 Depth=1
	s_mov_b64 s[66:67], exec
	v_mbcnt_lo_u32_b32 v0, s66, 0
	v_mbcnt_hi_u32_b32 v0, s67, v0
	v_cmp_eq_u32_e32 vcc, 0, v0
	s_waitcnt vmcnt(0) lgkmcnt(0)
	buffer_wbinvl1_vol
	s_and_saveexec_b64 s[42:43], vcc
	s_cbranch_execz .LBB12_192
; %bb.191:                              ;   in Loop: Header=BB12_79 Depth=1
	s_bcnt1_i32_b64 vcc_lo, s[66:67]
	v_mov_b32_e32 v2, vcc_lo
	v_mov_b32_e32 v3, v16
	ds_add_u64 v0, v[2:3]
	s_trap 2
.LBB12_192:                             ;   in Loop: Header=BB12_79 Depth=1
	s_or_b64 exec, exec, s[42:43]
	s_trap 2
	ds_read_b64 v[2:3], v0
	v_add_co_u32_e32 v32, vcc, v32, v36
	v_addc_co_u32_e32 v33, vcc, 0, v33, vcc
	s_waitcnt lgkmcnt(0)
	v_cmp_lt_u64_e32 vcc, v[2:3], v[32:33]
	s_and_saveexec_b64 s[42:43], vcc
	s_cbranch_execz .LBB12_288
; %bb.193:                              ;   in Loop: Header=BB12_79 Depth=1
	s_mov_b32 s76, 0
	s_mov_b64 s[66:67], 0
                                        ; implicit-def: $sgpr68_sgpr69
                                        ; implicit-def: $sgpr70_sgpr71
	s_branch .LBB12_195
.LBB12_194:                             ;   in Loop: Header=BB12_195 Depth=2
	s_or_b64 exec, exec, s[74:75]
	s_and_b64 vcc, exec, vcc
	s_or_b64 s[66:67], vcc, s[66:67]
	s_andn2_b64 vcc, s[68:69], exec
	s_and_b64 s[68:69], s[70:71], exec
	s_or_b64 s[68:69], vcc, s[68:69]
	s_andn2_b64 exec, exec, s[66:67]
	s_cbranch_execz .LBB12_286
.LBB12_195:                             ;   Parent Loop BB12_79 Depth=1
                                        ; =>  This Inner Loop Header: Depth=2
	s_add_i32 s76, s76, 1
	s_cmpk_lg_i32 s76, 0x2710
	s_cselect_b64 s[72:73], -1, 0
	s_and_b64 vcc, exec, s[72:73]
                                        ; implicit-def: $sgpr74_sgpr75
	s_cbranch_vccnz .LBB12_197
; %bb.196:                              ;   in Loop: Header=BB12_195 Depth=2
	s_trap 2
	ds_read_b64 v[2:3], v0
	s_andn2_b64 s[72:73], s[72:73], exec
	s_mov_b32 s76, 0
	s_mov_b64 s[74:75], -1
	s_waitcnt lgkmcnt(0)
	flat_load_dword v0, v[2:3] glc
	s_waitcnt vmcnt(0) lgkmcnt(0)
	buffer_invl2
	buffer_wbinvl1_vol
	v_cmp_eq_u32_e32 vcc, 0, v0
	s_and_b64 vcc, vcc, exec
	s_or_b64 s[72:73], s[72:73], vcc
.LBB12_197:                             ;   in Loop: Header=BB12_195 Depth=2
	s_andn2_b64 s[70:71], s[70:71], exec
	s_and_b64 s[74:75], s[74:75], exec
	s_mov_b64 vcc, -1
	s_or_b64 s[70:71], s[70:71], s[74:75]
	s_and_saveexec_b64 s[74:75], s[72:73]
	s_cbranch_execz .LBB12_194
; %bb.198:                              ;   in Loop: Header=BB12_195 Depth=2
	s_sleep 1
	s_trap 2
	ds_read_b64 v[2:3], v0
	s_andn2_b64 s[70:71], s[70:71], exec
	s_waitcnt lgkmcnt(0)
	v_cmp_ge_u64_e32 vcc, v[2:3], v[32:33]
	s_orn2_b64 vcc, vcc, exec
	s_branch .LBB12_194
.LBB12_199:                             ;   in Loop: Header=BB12_79 Depth=1
	s_or_b64 exec, exec, s[64:65]
	s_and_saveexec_b64 vcc, s[66:67]
	s_xor_b64 vcc, exec, vcc
	s_cbranch_execz .LBB12_201
; %bb.200:                              ;   in Loop: Header=BB12_79 Depth=1
	ds_write_b32 v0, v47
	s_trap 2
.LBB12_201:                             ;   in Loop: Header=BB12_79 Depth=1
	s_or_b64 exec, exec, s[42:43]
	;;#ASMSTART
	s_wakeup
	;;#ASMEND
.LBB12_202:                             ;   in Loop: Header=BB12_79 Depth=1
	s_or_b64 exec, exec, s[40:41]
.LBB12_203:                             ;   in Loop: Header=BB12_79 Depth=1
	s_andn2_saveexec_b64 vcc, s[38:39]
	s_cbranch_execz .LBB12_205
; %bb.204:                              ;   in Loop: Header=BB12_79 Depth=1
	s_waitcnt vmcnt(0) lgkmcnt(0)
	buffer_wbinvl1_vol
	s_barrier
.LBB12_205:                             ;   in Loop: Header=BB12_79 Depth=1
	s_or_b64 exec, exec, vcc
.LBB12_206:                             ;   in Loop: Header=BB12_79 Depth=1
	s_or_b64 exec, exec, s[36:37]
	s_trap 2
	ds_read_b64 v[2:3], v0
	s_mov_b64 s[36:37], 0
	s_waitcnt lgkmcnt(0)
	v_readfirstlane_b32 vcc_lo, v2
	v_readfirstlane_b32 vcc_hi, v3
	s_cmp_eq_u64 vcc, 0
	s_cselect_b64 vcc, -1, 0
	s_or_b64 vcc, vcc, vcc
	s_and_b64 vcc, exec, vcc
	s_cbranch_vccnz .LBB12_240
; %bb.207:                              ;   in Loop: Header=BB12_79 Depth=1
	s_trap 2
	ds_read_b64 v[2:3], v0
	v_cmp_eq_u32_e64 s[36:37], 0, v1
	v_cndmask_b32_e64 v37, 0, v42, s[36:37]
	s_waitcnt lgkmcnt(0)
	v_cmp_ne_u64_e32 vcc, 0, v[2:3]
	s_cbranch_vccz .LBB12_245
; %bb.208:                              ;   in Loop: Header=BB12_79 Depth=1
	s_mov_b64 s[38:39], -1
	s_and_saveexec_b64 s[36:37], s[22:23]
	s_cbranch_execz .LBB12_210
; %bb.209:                              ;   in Loop: Header=BB12_79 Depth=1
	ds_read_b32 v0, v0 offset:720
	s_waitcnt lgkmcnt(0)
	v_and_b32_e32 v0, 15, v0
	v_cmp_eq_u32_e32 vcc, 0, v0
	s_orn2_b64 s[38:39], vcc, exec
.LBB12_210:                             ;   in Loop: Header=BB12_79 Depth=1
	s_or_b64 exec, exec, s[36:37]
	s_and_saveexec_b64 s[36:37], s[24:25]
	s_cbranch_execz .LBB12_212
; %bb.211:                              ;   in Loop: Header=BB12_79 Depth=1
	ds_read_b32 v0, v0 offset:784
	s_waitcnt lgkmcnt(0)
	v_and_b32_e32 v0, 15, v0
	v_cmp_eq_u32_e32 vcc, 0, v0
	s_and_b64 vcc, s[38:39], vcc
	s_andn2_b64 s[38:39], s[38:39], exec
	s_and_b64 vcc, vcc, exec
	s_or_b64 s[38:39], s[38:39], vcc
.LBB12_212:                             ;   in Loop: Header=BB12_79 Depth=1
	s_or_b64 exec, exec, s[36:37]
	s_xor_b64 vcc, s[38:39], -1
	v_cndmask_b32_e64 v0, 0, 1, vcc
	s_mov_b64 s[36:37], -1
	;;#ASMSTART
	;;#ASMEND
	v_cmp_ne_u32_e32 vcc, 0, v0
	v_mov_b32_e32 v15, 0
	v_mov_b32_e32 v3, v37
	;; [unrolled: 1-line block ×4, first 2 shown]
	s_cbranch_vccnz .LBB12_228
; %bb.213:                              ;   in Loop: Header=BB12_79 Depth=1
	v_ashrrev_i32_e32 v0, 31, v37
	v_lshrrev_b32_e32 v0, 20, v0
	v_add_u32_e32 v0, v37, v0
	v_ashrrev_i32_e32 v1, 12, v0
	v_sub_u32_e32 v0, v1, v51
	v_cmp_lt_i32_e32 vcc, 0, v0
	s_and_saveexec_b64 s[36:37], vcc
	s_cbranch_execz .LBB12_217
; %bb.214:                              ;   in Loop: Header=BB12_79 Depth=1
	v_mov_b32_e32 v4, v14
	s_trap 2
	ds_read_b64 v[2:3], v0
	ds_read_b128 v[12:15], v0
	s_mov_b64 s[38:39], 0
	s_waitcnt vmcnt(0) lgkmcnt(0)
	v_add_co_u32_e32 v2, vcc, v2, v18
	v_addc_co_u32_e32 v3, vcc, v3, v21, vcc
	v_add_co_u32_e32 v12, vcc, v12, v18
	v_addc_co_u32_e32 v13, vcc, v13, v21, vcc
	;; [unrolled: 2-line block ×3, first 2 shown]
.LBB12_215:                             ;   Parent Loop BB12_79 Depth=1
                                        ; =>  This Inner Loop Header: Depth=2
	global_load_dwordx4 v[18:21], v[2:3], off glc slc
	global_load_dwordx4 v[24:27], v[2:3], off offset:1024 glc slc
	global_load_dwordx4 v[48:51], v[2:3], off offset:2048 glc slc
	;; [unrolled: 1-line block ×3, first 2 shown]
	v_add_co_u32_e32 v2, vcc, v2, v17
	v_addc_co_u32_e32 v3, vcc, v3, v61, vcc
	v_sub_u32_e32 v0, v0, v36
	v_cmp_gt_i32_e32 vcc, 1, v0
	s_or_b64 s[38:39], vcc, s[38:39]
	s_waitcnt vmcnt(0)
	global_store_dwordx4 v[12:13], v[18:21], off glc slc
	global_store_dwordx4 v[12:13], v[24:27], off offset:1024 glc slc
	global_store_dwordx4 v[12:13], v[48:51], off offset:2048 glc slc
	global_store_dwordx4 v[12:13], v[52:55], off offset:3072 glc slc
	global_store_dwordx4 v[14:15], v[18:21], off glc slc
	global_store_dwordx4 v[14:15], v[24:27], off offset:1024 glc slc
	global_store_dwordx4 v[14:15], v[48:51], off offset:2048 glc slc
	;; [unrolled: 1-line block ×3, first 2 shown]
	v_add_co_u32_e32 v12, vcc, v12, v17
	v_addc_co_u32_e32 v13, vcc, v13, v61, vcc
	v_add_co_u32_e32 v14, vcc, v14, v17
	v_addc_co_u32_e32 v15, vcc, v15, v61, vcc
	s_andn2_b64 exec, exec, s[38:39]
	s_cbranch_execnz .LBB12_215
; %bb.216:                              ;   in Loop: Header=BB12_79 Depth=1
	s_or_b64 exec, exec, s[38:39]
	buffer_load_dword v18, off, s[0:3], s33 offset:92 ; 4-byte Folded Reload
	buffer_load_dword v19, off, s[0:3], s33 offset:96 ; 4-byte Folded Reload
	;; [unrolled: 1-line block ×4, first 2 shown]
	v_accvgpr_read_b32 v53, a3
	v_accvgpr_read_b32 v24, a26
	;; [unrolled: 1-line block ×11, first 2 shown]
	v_mov_b32_e32 v14, v4
.LBB12_217:                             ;   in Loop: Header=BB12_79 Depth=1
	s_or_b64 exec, exec, s[36:37]
	v_lshlrev_b32_e32 v11, 12, v1
	v_cmp_ne_u32_e32 vcc, v37, v11
	s_mov_b64 s[36:37], 0
	v_mov_b32_e32 v15, 0
                                        ; implicit-def: $vgpr3
                                        ; implicit-def: $vgpr2
                                        ; implicit-def: $vgpr1
	s_and_saveexec_b64 s[64:65], vcc
	s_cbranch_execz .LBB12_227
; %bb.218:                              ;   in Loop: Header=BB12_79 Depth=1
	v_lshlrev_b32_e32 v0, 6, v0
	v_accvgpr_read_b32 v1, a32
	v_sub_u32_e32 v0, v1, v0
	v_sub_u32_e32 v2, v37, v11
	v_ashrrev_i32_e32 v1, 31, v0
	v_lshrrev_b32_e32 v1, 26, v1
	v_ashrrev_i32_e32 v4, 31, v2
	v_add_u32_e32 v1, v0, v1
	v_lshrrev_b32_e32 v4, 22, v4
	v_ashrrev_i32_e32 v3, 6, v1
	v_and_b32_e32 v1, 0xffffffc0, v1
	v_add_u32_e32 v4, v2, v4
	s_waitcnt vmcnt(0)
	v_sub_u32_e32 v19, v0, v1
	v_and_b32_e32 v20, 0xfffffc00, v4
	v_lshlrev_b32_e32 v0, 4, v19
	v_sub_u32_e32 v24, v2, v20
	v_lshl_add_u32 v1, v3, 10, v0
	v_ashrrev_i32_e32 v5, 10, v4
	v_cmp_lt_i32_e64 s[36:37], 15, v24
	v_sub_u32_e32 v0, v2, v1
	v_addc_co_u32_e64 v2, vcc, 0, v5, s[36:37]
	v_sub_u32_e32 v21, v2, v3
	v_cmp_lt_i32_e32 vcc, 15, v0
	s_and_saveexec_b64 s[66:67], vcc
	s_cbranch_execz .LBB12_224
; %bb.219:                              ;   in Loop: Header=BB12_79 Depth=1
	s_trap 2
	ds_read_b64 v[2:3], v0
	v_mov_b32_e32 v18, v14
	ds_read_b128 v[12:15], v0
	v_add_u32_e32 v4, v1, v11
	v_ashrrev_i32_e32 v5, 31, v4
	s_waitcnt lgkmcnt(1)
	v_add_co_u32_e32 v44, vcc, v2, v4
	v_addc_co_u32_e32 v45, vcc, v3, v5, vcc
	s_waitcnt lgkmcnt(0)
	v_add_co_u32_e32 v2, vcc, v12, v4
	v_addc_co_u32_e32 v1, vcc, v13, v5, vcc
	v_add_co_u32_e32 v10, vcc, v14, v4
	v_addc_co_u32_e32 v3, vcc, v15, v5, vcc
	s_mov_b64 s[68:69], 0
.LBB12_220:                             ;   Parent Loop BB12_79 Depth=1
                                        ; =>  This Loop Header: Depth=2
                                        ;       Child Loop BB12_221 Depth 3
	global_load_dwordx4 v[12:15], v[44:45], off glc slc
	s_mov_b64 s[72:73], -1
	s_mov_b64 s[70:71], 0
	s_waitcnt vmcnt(0)
.LBB12_221:                             ;   Parent Loop BB12_79 Depth=1
                                        ;     Parent Loop BB12_220 Depth=2
                                        ; =>    This Inner Loop Header: Depth=3
	s_cmp_eq_u32 s70, 0
	s_cselect_b64 s[38:39], -1, 0
	s_cmp_eq_u32 s70, 1
	v_cndmask_b32_e64 v4, 0, 1, s[72:73]
	s_cselect_b64 s[42:43], -1, 0
	v_cmp_ne_u32_e64 s[40:41], 1, v4
	v_cndmask_b32_e64 v5, v1, v3, s[42:43]
	v_cndmask_b32_e64 v4, v2, v10, s[42:43]
	global_store_dwordx4 v[4:5], v[12:15], off glc slc
	v_add_co_u32_e32 v4, vcc, 0x400, v4
	v_addc_co_u32_e32 v5, vcc, 0, v5, vcc
	s_mov_b64 s[72:73], 0
	s_mov_b64 s[70:71], 1
	v_cndmask_b32_e64 v10, v10, v4, s[42:43]
	s_and_b64 vcc, exec, s[40:41]
	v_cndmask_b32_e64 v3, v3, v5, s[42:43]
	v_cndmask_b32_e64 v1, v1, v5, s[38:39]
	;; [unrolled: 1-line block ×3, first 2 shown]
	s_cbranch_vccz .LBB12_221
; %bb.222:                              ;   in Loop: Header=BB12_220 Depth=2
	v_accvgpr_read_b32 v4, a24
	v_add_co_u32_e32 v2, vcc, v2, v4
	v_accvgpr_read_b32 v5, a29
	v_addc_co_u32_e32 v1, vcc, v1, v5, vcc
	v_add_co_u32_e32 v10, vcc, v10, v4
	v_addc_co_u32_e32 v3, vcc, v3, v5, vcc
	v_add_co_u32_e32 v44, vcc, v43, v44
	v_accvgpr_read_b32 v4, a34
	v_addc_co_u32_e32 v45, vcc, v4, v45, vcc
	v_sub_u32_e32 v0, v0, v50
	v_cmp_gt_i32_e32 vcc, 16, v0
	s_or_b64 s[68:69], vcc, s[68:69]
	v_sub_u32_e32 v21, v21, v36
	s_andn2_b64 exec, exec, s[68:69]
	s_cbranch_execnz .LBB12_220
; %bb.223:                              ;   in Loop: Header=BB12_79 Depth=1
	s_or_b64 exec, exec, s[68:69]
	v_accvgpr_read_b32 v45, a17
	v_accvgpr_read_b32 v44, a16
	v_mov_b32_e32 v14, v18
.LBB12_224:                             ;   in Loop: Header=BB12_79 Depth=1
	s_or_b64 exec, exec, s[66:67]
	v_and_b32_e32 v0, 15, v37
	v_cndmask_b32_e64 v3, v24, v0, s[36:37]
	v_cmp_ne_u32_e32 vcc, 0, v3
	s_mov_b64 s[38:39], 0
	v_mov_b32_e32 v15, 0
                                        ; implicit-def: $vgpr2
                                        ; implicit-def: $vgpr1
	s_and_saveexec_b64 s[40:41], vcc
	s_cbranch_execz .LBB12_226
; %bb.225:                              ;   in Loop: Header=BB12_79 Depth=1
	v_sub_u32_e32 v0, v24, v0
	v_cndmask_b32_e64 v0, 0, v0, s[36:37]
	v_cmp_lt_i32_e32 vcc, 0, v21
	v_add3_u32 v15, v20, v11, v0
	v_cndmask_b32_e32 v0, 0, v36, vcc
	v_sub_u32_e32 v0, v0, v21
	v_lshl_add_u32 v2, v0, 6, v19
	v_ashrrev_i32_e32 v0, 31, v2
	v_lshrrev_b32_e32 v0, 26, v0
	v_add_u32_e32 v0, v2, v0
	s_mov_b64 s[38:39], exec
	v_ashrrev_i32_e32 v1, 6, v0
.LBB12_226:                             ;   in Loop: Header=BB12_79 Depth=1
	s_or_b64 exec, exec, s[40:41]
	buffer_load_dword v18, off, s[0:3], s33 offset:92 ; 4-byte Folded Reload
	buffer_load_dword v19, off, s[0:3], s33 offset:96 ; 4-byte Folded Reload
	;; [unrolled: 1-line block ×4, first 2 shown]
	v_accvgpr_read_b32 v24, a26
	s_and_b64 s[36:37], s[38:39], exec
	v_accvgpr_read_b32 v25, a27
.LBB12_227:                             ;   in Loop: Header=BB12_79 Depth=1
	s_or_b64 exec, exec, s[64:65]
.LBB12_228:                             ;   in Loop: Header=BB12_79 Depth=1
	s_and_saveexec_b64 s[40:41], s[36:37]
	s_cbranch_execz .LBB12_239
; %bb.229:                              ;   in Loop: Header=BB12_79 Depth=1
	v_ashrrev_i32_e32 v0, 31, v3
	v_lshrrev_b32_e32 v0, 21, v0
	v_add_u32_e32 v0, v3, v0
	v_ashrrev_i32_e32 v0, 11, v0
	v_sub_u32_e32 v49, v0, v1
	v_cmp_lt_i32_e32 vcc, 0, v49
	v_ashrrev_i32_e32 v4, 31, v2
	s_and_saveexec_b64 s[36:37], vcc
	s_cbranch_execz .LBB12_233
; %bb.230:                              ;   in Loop: Header=BB12_79 Depth=1
	v_accvgpr_write_b32 a39, v0
	v_lshrrev_b32_e32 v0, 26, v4
	v_add_u32_e32 v0, v2, v0
	v_and_b32_e32 v0, 0xffffffc0, v0
	v_sub_u32_e32 v0, v2, v0
	s_trap 2
	v_accvgpr_write_b32 a38, v4
	ds_read_b64 v[4:5], v0
	ds_read_b128 v[10:13], v0
	v_lshlrev_b32_e32 v1, 11, v1
	v_add3_u32 v0, v15, v0, v1
	v_accvgpr_write_b32 a37, v2
	v_ashrrev_i32_e32 v1, 31, v0
	s_waitcnt lgkmcnt(0)
	v_add_co_u32_e32 v2, vcc, v10, v0
	v_accvgpr_write_b32 a36, v3
	v_addc_co_u32_e32 v3, vcc, v11, v1, vcc
	v_add_co_u32_e32 v12, vcc, v12, v0
	v_addc_co_u32_e32 v13, vcc, v13, v1, vcc
	v_add_co_u32_e32 v4, vcc, 0x7c0, v4
	v_addc_co_u32_e32 v5, vcc, 0, v5, vcc
	v_accvgpr_write_b32 a18, v14
	v_add_co_u32_e32 v14, vcc, v4, v0
	v_mov_b32_e32 v60, v37
	v_accvgpr_write_b32 a4, v16
	v_accvgpr_write_b32 a35, v15
	v_addc_co_u32_e32 v15, vcc, v5, v1, vcc
	s_mov_b64 s[38:39], 0
	v_mov_b32_e32 v58, v36
.LBB12_231:                             ;   Parent Loop BB12_79 Depth=1
                                        ; =>  This Inner Loop Header: Depth=2
	v_add_co_u32_e32 v44, vcc, 0xfffff840, v14
	v_addc_co_u32_e32 v45, vcc, -1, v15, vcc
	v_add_co_u32_e32 v0, vcc, 0xfffff880, v14
	v_addc_co_u32_e32 v1, vcc, -1, v15, vcc
	;; [unrolled: 2-line block ×3, first 2 shown]
	flat_load_ubyte v44, v[44:45] glc slc
	v_sub_u32_e32 v49, v49, v58
	flat_load_ubyte v45, v[0:1] glc slc
	v_add_co_u32_e32 v0, vcc, 0xfffff900, v14
	v_addc_co_u32_e32 v1, vcc, -1, v15, vcc
	flat_load_ubyte v11, v[4:5] glc slc
	v_add_co_u32_e32 v4, vcc, 0xfffff940, v14
	v_addc_co_u32_e32 v5, vcc, -1, v15, vcc
	;; [unrolled: 3-line block ×8, first 2 shown]
	s_waitcnt vmcnt(0)
	flat_load_ubyte v20, v[0:1] glc slc
	v_add_co_u32_e32 v0, vcc, 0xfffffb00, v14
	v_addc_co_u32_e32 v1, vcc, -1, v15, vcc
	flat_load_ubyte v21, v[4:5] glc slc
	v_add_co_u32_e32 v4, vcc, 0xfffffb40, v14
	v_addc_co_u32_e32 v5, vcc, -1, v15, vcc
	;; [unrolled: 3-line block ×4, first 2 shown]
	flat_load_ubyte v36, v[0:1] glc slc
	v_add_co_u32_e32 v0, vcc, s81, v14
	flat_load_ubyte v52, v[14:15] glc slc
	v_addc_co_u32_e32 v1, vcc, -1, v15, vcc
	flat_load_ubyte v48, v[4:5] glc slc
	v_add_co_u32_e32 v4, vcc, 0xfffffc40, v14
	v_addc_co_u32_e32 v5, vcc, -1, v15, vcc
	flat_load_ubyte v47, v[0:1] glc slc
	v_add_co_u32_e32 v0, vcc, 0xfffffc80, v14
	;; [unrolled: 3-line block ×9, first 2 shown]
	v_addc_co_u32_e32 v5, vcc, -1, v15, vcc
	v_add_co_u32_e32 v16, vcc, 0xfffffe80, v14
	v_addc_co_u32_e32 v17, vcc, -1, v15, vcc
	flat_load_ubyte v18, v[4:5] glc slc
	v_add_co_u32_e32 v4, vcc, 0xfffffec0, v14
	v_addc_co_u32_e32 v5, vcc, -1, v15, vcc
	flat_load_ubyte v37, v[16:17] glc slc
	v_add_co_u32_e32 v16, vcc, 0xffffff00, v14
	flat_load_ubyte v0, v[0:1] glc slc
	v_addc_co_u32_e32 v17, vcc, -1, v15, vcc
	flat_load_ubyte v51, v[4:5] glc slc
	v_add_co_u32_e32 v4, vcc, 0xffffff40, v14
	v_addc_co_u32_e32 v5, vcc, -1, v15, vcc
	flat_load_ubyte v40, v[16:17] glc slc
	v_add_co_u32_e32 v16, vcc, 0xffffff80, v14
	;; [unrolled: 3-line block ×3, first 2 shown]
	flat_load_ubyte v43, v[16:17] glc slc
	v_addc_co_u32_e32 v5, vcc, -1, v15, vcc
	flat_load_ubyte v10, v[4:5] glc slc
	v_cmp_gt_i32_e32 vcc, 1, v49
	s_or_b64 s[38:39], vcc, s[38:39]
	v_add_co_u32_e32 v14, vcc, v14, v59
	v_addc_co_u32_e32 v15, vcc, v15, v62, vcc
	s_waitcnt vmcnt(0) lgkmcnt(0)
	flat_store_byte v[2:3], v52 offset:1984 glc slc
	flat_store_byte v[2:3], v44 glc slc
	flat_store_byte v[2:3], v45 offset:64 glc slc
	flat_store_byte v[2:3], v11 offset:128 glc slc
	;; [unrolled: 1-line block ×30, first 2 shown]
	flat_store_byte v[12:13], v44 glc slc
	flat_store_byte v[12:13], v45 offset:64 glc slc
	flat_store_byte v[12:13], v11 offset:128 glc slc
	;; [unrolled: 1-line block ×31, first 2 shown]
	v_add_co_u32_e32 v2, vcc, v2, v59
	v_addc_co_u32_e32 v3, vcc, v3, v62, vcc
	v_add_co_u32_e32 v12, vcc, v12, v59
	v_addc_co_u32_e32 v13, vcc, v13, v62, vcc
	s_andn2_b64 exec, exec, s[38:39]
	s_cbranch_execnz .LBB12_231
; %bb.232:                              ;   in Loop: Header=BB12_79 Depth=1
	s_or_b64 exec, exec, s[38:39]
	buffer_load_dword v18, off, s[0:3], s33 offset:92 ; 4-byte Folded Reload
	buffer_load_dword v19, off, s[0:3], s33 offset:96 ; 4-byte Folded Reload
	;; [unrolled: 1-line block ×4, first 2 shown]
	v_accvgpr_read_b32 v41, a1
	v_accvgpr_read_b32 v53, a3
	;; [unrolled: 1-line block ×12, first 2 shown]
	v_mov_b32_e32 v36, v58
	v_accvgpr_read_b32 v29, a19
	v_mov_b32_e32 v47, 1
	v_accvgpr_read_b32 v48, a20
	v_accvgpr_read_b32 v50, a21
	;; [unrolled: 1-line block ×11, first 2 shown]
	v_mov_b32_e32 v37, v60
	v_accvgpr_read_b32 v15, a35
	v_accvgpr_read_b32 v3, a36
	;; [unrolled: 1-line block ×5, first 2 shown]
.LBB12_233:                             ;   in Loop: Header=BB12_79 Depth=1
	s_or_b64 exec, exec, s[36:37]
	v_lshlrev_b32_e32 v0, 11, v0
	v_cmp_ne_u32_e32 vcc, v3, v0
	s_and_b64 exec, exec, vcc
	s_cbranch_execz .LBB12_239
; %bb.234:                              ;   in Loop: Header=BB12_79 Depth=1
	v_lshrrev_b32_e32 v1, 26, v4
	v_add_u32_e32 v1, v2, v1
	v_and_b32_e32 v1, 0xffffffc0, v1
	v_sub_u32_e32 v1, v2, v1
	v_lshlrev_b32_e32 v2, 6, v49
	v_sub_u32_e32 v1, v1, v2
	v_add_u32_e32 v1, v0, v1
	v_sub_u32_e32 v0, v3, v1
	v_cmp_lt_i32_e32 vcc, 0, v0
	s_and_b64 exec, exec, vcc
	s_cbranch_execz .LBB12_239
; %bb.235:                              ;   in Loop: Header=BB12_79 Depth=1
	s_trap 2
	ds_read_b64 v[2:3], v0
	s_waitcnt vmcnt(0)
	ds_read_b128 v[18:21], v0
	v_add_u32_e32 v4, v1, v15
	v_ashrrev_i32_e32 v5, 31, v4
	s_mov_b64 s[42:43], 0
	s_waitcnt lgkmcnt(0)
	v_add_co_u32_e32 v12, vcc, v2, v4
	v_addc_co_u32_e32 v13, vcc, v3, v5, vcc
	v_add_co_u32_e32 v2, vcc, v18, v4
	v_addc_co_u32_e32 v1, vcc, v19, v5, vcc
	;; [unrolled: 2-line block ×3, first 2 shown]
	buffer_load_dword v20, off, s[0:3], s33 offset:100 ; 4-byte Folded Reload
	buffer_load_dword v21, off, s[0:3], s33 offset:104 ; 4-byte Folded Reload
	;; [unrolled: 1-line block ×4, first 2 shown]
.LBB12_236:                             ;   Parent Loop BB12_79 Depth=1
                                        ; =>  This Loop Header: Depth=2
                                        ;       Child Loop BB12_237 Depth 3
	flat_load_ubyte v11, v[12:13] glc slc
	s_mov_b64 s[64:65], -1
	s_mov_b64 s[66:67], 0
	s_waitcnt vmcnt(0)
.LBB12_237:                             ;   Parent Loop BB12_79 Depth=1
                                        ;     Parent Loop BB12_236 Depth=2
                                        ; =>    This Inner Loop Header: Depth=3
	s_cmp_eq_u32 s66, 1
	s_cselect_b64 vcc, -1, 0
	v_cndmask_b32_e32 v5, v1, v3, vcc
	v_cndmask_b32_e32 v4, v2, v10, vcc
	s_waitcnt lgkmcnt(0)
	flat_store_byte v[4:5], v11 glc slc
	v_add_co_u32_e64 v4, s[36:37], 64, v4
	s_cmp_eq_u32 s66, 0
	v_addc_co_u32_e64 v5, s[36:37], 0, v5, s[36:37]
	s_cselect_b64 s[36:37], -1, 0
	s_and_b64 s[38:39], exec, s[64:65]
	s_mov_b64 s[66:67], 1
	s_mov_b64 s[64:65], 0
	v_cndmask_b32_e32 v3, v3, v5, vcc
	v_cndmask_b32_e32 v10, v10, v4, vcc
	v_cndmask_b32_e64 v1, v1, v5, s[36:37]
	v_cndmask_b32_e64 v2, v2, v4, s[36:37]
	s_mov_b64 vcc, s[38:39]
	s_cbranch_vccnz .LBB12_237
; %bb.238:                              ;   in Loop: Header=BB12_236 Depth=2
	v_add_co_u32_e32 v2, vcc, v2, v54
	v_addc_co_u32_e32 v1, vcc, v1, v27, vcc
	v_add_co_u32_e32 v10, vcc, v10, v54
	v_addc_co_u32_e32 v3, vcc, v3, v27, vcc
	v_sub_u32_e32 v0, v0, v29
	v_cmp_gt_i32_e32 vcc, 1, v0
	s_or_b64 s[42:43], vcc, s[42:43]
	v_add_co_u32_e32 v12, vcc, v55, v12
	v_addc_co_u32_e32 v13, vcc, v26, v13, vcc
	s_andn2_b64 exec, exec, s[42:43]
	s_cbranch_execnz .LBB12_236
.LBB12_239:                             ;   in Loop: Header=BB12_79 Depth=1
	s_or_b64 exec, exec, s[40:41]
	s_branch .LBB12_274
.LBB12_240:                             ;   in Loop: Header=BB12_79 Depth=1
	s_and_saveexec_b64 s[38:39], s[14:15]
	s_cbranch_execnz .LBB12_275
.LBB12_241:                             ;   in Loop: Header=BB12_79 Depth=1
	s_or_b64 exec, exec, s[38:39]
                                        ; implicit-def: $vgpr0
	s_and_saveexec_b64 vcc, s[28:29]
	s_xor_b64 s[38:39], exec, vcc
	s_cbranch_execz .LBB12_381
.LBB12_242:                             ;   in Loop: Header=BB12_79 Depth=1
	v_and_b32_e32 v1, 16, v46
	v_cmp_ne_u32_e32 vcc, 0, v1
	v_and_b32_e32 v0, 16, v46
	s_and_b64 s[36:37], vcc, s[36:37]
	s_and_saveexec_b64 vcc, s[36:37]
	s_cbranch_execz .LBB12_244
; %bb.243:                              ;   in Loop: Header=BB12_79 Depth=1
	v_mov_b32_e32 v0, 1
	s_waitcnt vmcnt(0) lgkmcnt(0)
	buffer_wbinvl1_vol
.LBB12_244:                             ;   in Loop: Header=BB12_79 Depth=1
	s_or_b64 exec, exec, vcc
	s_andn2_saveexec_b64 s[36:37], s[38:39]
	s_cbranch_execz .LBB12_419
	s_branch .LBB12_382
.LBB12_245:                             ;   in Loop: Header=BB12_79 Depth=1
	s_cbranch_execz .LBB12_274
; %bb.246:                              ;   in Loop: Header=BB12_79 Depth=1
	s_mov_b64 s[36:37], -1
	s_and_saveexec_b64 s[38:39], s[22:23]
	s_cbranch_execz .LBB12_248
; %bb.247:                              ;   in Loop: Header=BB12_79 Depth=1
	ds_read_b32 v0, v0 offset:720
	s_waitcnt lgkmcnt(0)
	v_and_b32_e32 v0, 15, v0
	v_cmp_eq_u32_e32 vcc, 0, v0
	s_orn2_b64 s[36:37], vcc, exec
.LBB12_248:                             ;   in Loop: Header=BB12_79 Depth=1
	s_or_b64 exec, exec, s[38:39]
	s_and_saveexec_b64 s[38:39], s[26:27]
	s_cbranch_execz .LBB12_250
; %bb.249:                              ;   in Loop: Header=BB12_79 Depth=1
	ds_read_b32 v0, v0 offset:784
	s_waitcnt lgkmcnt(0)
	v_and_b32_e32 v0, 15, v0
	v_cmp_eq_u32_e32 vcc, 0, v0
	s_and_b64 vcc, s[36:37], vcc
	s_andn2_b64 s[36:37], s[36:37], exec
	s_and_b64 vcc, vcc, exec
	s_or_b64 s[36:37], s[36:37], vcc
.LBB12_250:                             ;   in Loop: Header=BB12_79 Depth=1
	s_or_b64 exec, exec, s[38:39]
	s_xor_b64 vcc, s[36:37], -1
	v_cndmask_b32_e64 v0, 0, 1, vcc
	s_mov_b64 s[40:41], -1
	;;#ASMSTART
	;;#ASMEND
	v_cmp_ne_u32_e32 vcc, 0, v0
	v_mov_b32_e32 v5, 0
	v_mov_b32_e32 v49, v37
	;; [unrolled: 1-line block ×4, first 2 shown]
	s_cbranch_vccnz .LBB12_264
; %bb.251:                              ;   in Loop: Header=BB12_79 Depth=1
	v_ashrrev_i32_e32 v0, 31, v37
	v_lshrrev_b32_e32 v0, 20, v0
	v_add_u32_e32 v0, v37, v0
	v_ashrrev_i32_e32 v0, 12, v0
	v_sub_u32_e32 v1, v0, v51
	v_cmp_lt_i32_e32 vcc, 0, v1
	s_and_saveexec_b64 s[36:37], vcc
	s_cbranch_execz .LBB12_255
; %bb.252:                              ;   in Loop: Header=BB12_79 Depth=1
	s_trap 2
	ds_read_b64 v[2:3], v0
	s_mov_b64 s[38:39], 0
	s_waitcnt lgkmcnt(0)
	v_pk_mov_b32 v[12:13], v[2:3], v[2:3] op_sel:[0,1]
.LBB12_253:                             ;   Parent Loop BB12_79 Depth=1
                                        ; =>  This Inner Loop Header: Depth=2
	s_waitcnt vmcnt(0)
	v_add_co_u32_e32 v4, vcc, v18, v12
	v_addc_co_u32_e32 v5, vcc, v21, v13, vcc
	global_load_dwordx4 v[18:21], v[4:5], off glc slc
	global_load_dwordx4 v[24:27], v[4:5], off offset:1024 glc slc
	global_load_dwordx4 v[48:51], v[4:5], off offset:2048 glc slc
	;; [unrolled: 1-line block ×3, first 2 shown]
	s_nop 0
	buffer_load_dword v4, off, s[0:3], s33 offset:92 ; 4-byte Folded Reload
	buffer_load_dword v5, off, s[0:3], s33 offset:96 ; 4-byte Folded Reload
	;; [unrolled: 1-line block ×4, first 2 shown]
	v_sub_u32_e32 v1, v1, v36
	s_waitcnt vmcnt(3)
	v_add_co_u32_e32 v4, vcc, v4, v2
	s_waitcnt vmcnt(0)
	v_addc_co_u32_e32 v5, vcc, v11, v3, vcc
	global_store_dwordx4 v[4:5], v[18:21], off glc slc
	buffer_load_dword v20, off, s[0:3], s33 offset:100 ; 4-byte Folded Reload
	s_nop 0
	buffer_load_dword v21, off, s[0:3], s33 offset:104 ; 4-byte Folded Reload
	buffer_load_dword v18, off, s[0:3], s33 offset:92 ; 4-byte Folded Reload
	;; [unrolled: 1-line block ×3, first 2 shown]
	v_add_co_u32_e32 v12, vcc, v12, v17
	v_addc_co_u32_e32 v13, vcc, v13, v61, vcc
	v_add_co_u32_e32 v2, vcc, v2, v17
	v_addc_co_u32_e32 v3, vcc, v3, v61, vcc
	v_cmp_gt_i32_e32 vcc, 1, v1
	s_or_b64 s[38:39], vcc, s[38:39]
	global_store_dwordx4 v[4:5], v[24:27], off offset:1024 glc slc
	global_store_dwordx4 v[4:5], v[48:51], off offset:2048 glc slc
	;; [unrolled: 1-line block ×3, first 2 shown]
	s_andn2_b64 exec, exec, s[38:39]
	s_cbranch_execnz .LBB12_253
; %bb.254:                              ;   in Loop: Header=BB12_79 Depth=1
	s_or_b64 exec, exec, s[38:39]
	v_accvgpr_read_b32 v53, a3
	v_accvgpr_read_b32 v24, a26
	;; [unrolled: 1-line block ×11, first 2 shown]
.LBB12_255:                             ;   in Loop: Header=BB12_79 Depth=1
	s_or_b64 exec, exec, s[36:37]
	v_lshlrev_b32_e32 v0, 12, v0
	v_cmp_ne_u32_e32 vcc, v37, v0
	s_mov_b64 s[40:41], 0
	v_mov_b32_e32 v5, 0
                                        ; implicit-def: $vgpr49
                                        ; implicit-def: $vgpr11
                                        ; implicit-def: $vgpr10
	s_and_saveexec_b64 s[38:39], vcc
	s_cbranch_execz .LBB12_263
; %bb.256:                              ;   in Loop: Header=BB12_79 Depth=1
	v_lshlrev_b32_e32 v1, 6, v1
	v_accvgpr_read_b32 v3, a32
	v_sub_u32_e32 v1, v3, v1
	v_ashrrev_i32_e32 v3, 31, v1
	v_lshrrev_b32_e32 v3, 26, v3
	v_add_u32_e32 v3, v1, v3
	v_sub_u32_e32 v2, v37, v0
	v_ashrrev_i32_e32 v4, 6, v3
	v_and_b32_e32 v3, 0xffffffc0, v3
	v_sub_u32_e32 v12, v1, v3
	v_ashrrev_i32_e32 v3, 31, v2
	v_lshrrev_b32_e32 v3, 22, v3
	v_add_u32_e32 v3, v2, v3
	v_and_b32_e32 v13, 0xfffffc00, v3
	v_lshlrev_b32_e32 v1, 4, v12
	v_sub_u32_e32 v15, v2, v13
	v_lshl_add_u32 v1, v4, 10, v1
	v_ashrrev_i32_e32 v5, 10, v3
	v_cmp_lt_i32_e32 vcc, 15, v15
	v_sub_u32_e32 v11, v2, v1
	v_addc_co_u32_e64 v2, s[36:37], 0, v5, vcc
	v_accvgpr_write_b32 a4, v14
	v_sub_u32_e32 v14, v2, v4
	v_cmp_lt_i32_e64 s[36:37], 15, v11
	s_and_saveexec_b64 s[40:41], s[36:37]
	s_cbranch_execz .LBB12_260
; %bb.257:                              ;   in Loop: Header=BB12_79 Depth=1
	s_trap 2
	ds_read_b64 v[2:3], v0
	v_add_u32_e32 v10, v1, v0
	v_mov_b32_e32 v49, v37
	v_ashrrev_i32_e32 v1, 31, v10
	s_mov_b64 s[42:43], 0
	v_accvgpr_read_b32 v37, a34
.LBB12_258:                             ;   Parent Loop BB12_79 Depth=1
                                        ; =>  This Inner Loop Header: Depth=2
	s_waitcnt lgkmcnt(0)
	v_add_co_u32_e64 v4, s[36:37], v2, v10
	v_addc_co_u32_e64 v5, s[36:37], v3, v1, s[36:37]
	global_load_dwordx4 v[18:21], v[4:5], off glc slc
	v_add_co_u32_e64 v10, s[36:37], v10, v43
	v_sub_u32_e32 v11, v11, v50
	v_addc_co_u32_e64 v1, s[36:37], v1, v37, s[36:37]
	v_cmp_gt_i32_e64 s[36:37], 16, v11
	v_sub_u32_e32 v14, v14, v36
	s_or_b64 s[42:43], s[36:37], s[42:43]
	s_waitcnt vmcnt(0)
	global_store_dwordx4 v[4:5], v[18:21], off glc slc
	s_andn2_b64 exec, exec, s[42:43]
	s_cbranch_execnz .LBB12_258
; %bb.259:                              ;   in Loop: Header=BB12_79 Depth=1
	s_or_b64 exec, exec, s[42:43]
	buffer_load_dword v18, off, s[0:3], s33 offset:92 ; 4-byte Folded Reload
	buffer_load_dword v19, off, s[0:3], s33 offset:96 ; 4-byte Folded Reload
	;; [unrolled: 1-line block ×4, first 2 shown]
	v_mov_b32_e32 v37, v49
.LBB12_260:                             ;   in Loop: Header=BB12_79 Depth=1
	s_or_b64 exec, exec, s[40:41]
	v_and_b32_e32 v1, 15, v37
	v_cndmask_b32_e32 v49, v15, v1, vcc
	v_cmp_ne_u32_e64 s[36:37], 0, v49
	s_mov_b64 s[40:41], 0
	v_mov_b32_e32 v5, 0
                                        ; implicit-def: $vgpr11
                                        ; implicit-def: $vgpr10
	s_and_saveexec_b64 s[42:43], s[36:37]
	s_cbranch_execz .LBB12_262
; %bb.261:                              ;   in Loop: Header=BB12_79 Depth=1
	v_sub_u32_e32 v1, v15, v1
	v_cndmask_b32_e32 v1, 0, v1, vcc
	v_cmp_lt_i32_e32 vcc, 0, v14
	v_add3_u32 v5, v13, v0, v1
	v_cndmask_b32_e32 v0, 0, v36, vcc
	v_sub_u32_e32 v0, v0, v14
	v_lshl_add_u32 v11, v0, 6, v12
	v_ashrrev_i32_e32 v0, 31, v11
	v_lshrrev_b32_e32 v0, 26, v0
	v_add_u32_e32 v0, v11, v0
	s_mov_b64 s[40:41], exec
	v_ashrrev_i32_e32 v10, 6, v0
.LBB12_262:                             ;   in Loop: Header=BB12_79 Depth=1
	s_or_b64 exec, exec, s[42:43]
	s_and_b64 s[40:41], s[40:41], exec
	v_accvgpr_read_b32 v14, a4
.LBB12_263:                             ;   in Loop: Header=BB12_79 Depth=1
	s_or_b64 exec, exec, s[38:39]
.LBB12_264:                             ;   in Loop: Header=BB12_79 Depth=1
	s_and_saveexec_b64 s[36:37], s[40:41]
	s_cbranch_execz .LBB12_273
; %bb.265:                              ;   in Loop: Header=BB12_79 Depth=1
	v_ashrrev_i32_e32 v0, 31, v49
	v_lshrrev_b32_e32 v0, 21, v0
	v_add_u32_e32 v0, v49, v0
	v_ashrrev_i32_e32 v0, 11, v0
	s_waitcnt vmcnt(0)
	v_sub_u32_e32 v19, v0, v10
	v_cmp_lt_i32_e32 vcc, 0, v19
	s_and_saveexec_b64 s[38:39], vcc
	s_cbranch_execz .LBB12_269
; %bb.266:                              ;   in Loop: Header=BB12_79 Depth=1
	v_ashrrev_i32_e32 v1, 31, v11
	s_trap 2
	ds_read_b64 v[2:3], v0
	v_lshrrev_b32_e32 v1, 26, v1
	v_add_u32_e32 v1, v11, v1
	v_and_b32_e32 v1, 0xffffffc0, v1
	v_sub_u32_e32 v1, v11, v1
	v_lshlrev_b32_e32 v4, 11, v10
	v_add3_u32 v10, v5, v1, v4
	v_accvgpr_write_b32 a37, v0
	v_accvgpr_write_b32 a35, v37
	;; [unrolled: 1-line block ×5, first 2 shown]
	v_ashrrev_i32_e32 v1, 31, v10
	s_mov_b64 s[40:41], 0
	s_waitcnt lgkmcnt(0)
	v_pk_mov_b32 v[12:13], v[2:3], v[2:3] op_sel:[0,1]
	v_mov_b32_e32 v60, v36
.LBB12_267:                             ;   Parent Loop BB12_79 Depth=1
                                        ; =>  This Inner Loop Header: Depth=2
	v_add_co_u32_e32 v4, vcc, v10, v12
	v_addc_co_u32_e32 v5, vcc, v1, v13, vcc
	flat_load_ubyte v16, v[4:5] glc slc
	flat_load_ubyte v17, v[4:5] offset:64 glc slc
	flat_load_ubyte v18, v[4:5] offset:128 glc slc
	;; [unrolled: 1-line block ×30, first 2 shown]
	s_nop 0
	flat_load_ubyte v4, v[4:5] offset:1984 glc slc
	v_add_co_u32_e32 v14, vcc, v10, v2
	v_addc_co_u32_e32 v15, vcc, v1, v3, vcc
	v_add_co_u32_e32 v12, vcc, v12, v59
	v_addc_co_u32_e32 v13, vcc, v13, v62, vcc
	v_add_co_u32_e32 v2, vcc, v2, v59
	v_sub_u32_e32 v19, v19, v60
	v_addc_co_u32_e32 v3, vcc, v3, v62, vcc
	v_cmp_gt_i32_e32 vcc, 1, v19
	s_or_b64 s[40:41], vcc, s[40:41]
	s_waitcnt vmcnt(0) lgkmcnt(0)
	flat_store_byte v[14:15], v16 glc slc
	flat_store_byte v[14:15], v17 offset:64 glc slc
	flat_store_byte v[14:15], v18 offset:128 glc slc
	flat_store_byte v[14:15], v20 offset:192 glc slc
	flat_store_byte v[14:15], v21 offset:256 glc slc
	flat_store_byte v[14:15], v24 offset:320 glc slc
	flat_store_byte v[14:15], v25 offset:384 glc slc
	flat_store_byte v[14:15], v26 offset:448 glc slc
	flat_store_byte v[14:15], v27 offset:512 glc slc
	flat_store_byte v[14:15], v28 offset:576 glc slc
	flat_store_byte v[14:15], v29 offset:640 glc slc
	flat_store_byte v[14:15], v30 offset:704 glc slc
	flat_store_byte v[14:15], v36 offset:768 glc slc
	flat_store_byte v[14:15], v37 offset:832 glc slc
	flat_store_byte v[14:15], v48 offset:896 glc slc
	flat_store_byte v[14:15], v50 offset:960 glc slc
	flat_store_byte v[14:15], v51 offset:1024 glc slc
	flat_store_byte v[14:15], v52 offset:1088 glc slc
	flat_store_byte v[14:15], v53 offset:1152 glc slc
	flat_store_byte v[14:15], v54 offset:1216 glc slc
	flat_store_byte v[14:15], v55 offset:1280 glc slc
	flat_store_byte v[14:15], v40 offset:1344 glc slc
	flat_store_byte v[14:15], v41 offset:1408 glc slc
	flat_store_byte v[14:15], v43 offset:1472 glc slc
	flat_store_byte v[14:15], v44 offset:1536 glc slc
	flat_store_byte v[14:15], v45 offset:1600 glc slc
	flat_store_byte v[14:15], v47 offset:1664 glc slc
	flat_store_byte v[14:15], v56 offset:1728 glc slc
	flat_store_byte v[14:15], v57 offset:1792 glc slc
	flat_store_byte v[14:15], v58 offset:1856 glc slc
	flat_store_byte v[14:15], v0 offset:1920 glc slc
	flat_store_byte v[14:15], v4 offset:1984 glc slc
	s_andn2_b64 exec, exec, s[40:41]
	s_cbranch_execnz .LBB12_267
; %bb.268:                              ;   in Loop: Header=BB12_79 Depth=1
	s_or_b64 exec, exec, s[40:41]
	buffer_load_dword v0, off, s[0:3], s33 offset:92 ; 4-byte Folded Reload
	buffer_load_dword v1, off, s[0:3], s33 offset:96 ; 4-byte Folded Reload
	buffer_load_dword v20, off, s[0:3], s33 offset:100 ; 4-byte Folded Reload
	buffer_load_dword v21, off, s[0:3], s33 offset:104 ; 4-byte Folded Reload
	v_accvgpr_read_b32 v41, a1
	v_accvgpr_read_b32 v53, a3
	;; [unrolled: 1-line block ×12, first 2 shown]
	v_mov_b32_e32 v36, v60
	v_accvgpr_read_b32 v29, a19
	v_mov_b32_e32 v47, 1
	v_accvgpr_read_b32 v48, a20
	v_accvgpr_read_b32 v50, a21
	;; [unrolled: 1-line block ×13, first 2 shown]
	s_waitcnt vmcnt(0)
	v_mov_b32_e32 v18, v0
	v_accvgpr_read_b32 v0, a37
.LBB12_269:                             ;   in Loop: Header=BB12_79 Depth=1
	s_or_b64 exec, exec, s[38:39]
	v_lshlrev_b32_e32 v0, 11, v0
	v_cmp_ne_u32_e32 vcc, v49, v0
	s_and_b64 exec, exec, vcc
	s_cbranch_execz .LBB12_273
; %bb.270:                              ;   in Loop: Header=BB12_79 Depth=1
	v_ashrrev_i32_e32 v1, 31, v11
	v_lshrrev_b32_e32 v1, 26, v1
	v_add_u32_e32 v1, v11, v1
	v_and_b32_e32 v1, 0xffffffc0, v1
	v_sub_u32_e32 v1, v11, v1
	v_lshlrev_b32_e32 v2, 6, v19
	v_sub_u32_e32 v1, v1, v2
	v_add_u32_e32 v1, v0, v1
	v_sub_u32_e32 v0, v49, v1
	v_cmp_lt_i32_e32 vcc, 0, v0
	s_and_b64 exec, exec, vcc
	s_cbranch_execz .LBB12_273
; %bb.271:                              ;   in Loop: Header=BB12_79 Depth=1
	s_trap 2
	ds_read_b64 v[2:3], v0
	v_add_u32_e32 v10, v1, v5
	v_ashrrev_i32_e32 v1, 31, v10
	s_mov_b64 s[38:39], 0
.LBB12_272:                             ;   Parent Loop BB12_79 Depth=1
                                        ; =>  This Inner Loop Header: Depth=2
	s_waitcnt lgkmcnt(0)
	v_add_co_u32_e32 v4, vcc, v2, v10
	v_addc_co_u32_e32 v5, vcc, v3, v1, vcc
	flat_load_ubyte v11, v[4:5] glc slc
	v_add_co_u32_e32 v10, vcc, v10, v55
	v_sub_u32_e32 v0, v0, v29
	v_addc_co_u32_e32 v1, vcc, v1, v26, vcc
	v_cmp_gt_i32_e32 vcc, 1, v0
	s_or_b64 s[38:39], vcc, s[38:39]
	s_waitcnt vmcnt(0) lgkmcnt(0)
	flat_store_byte v[4:5], v11 glc slc
	s_andn2_b64 exec, exec, s[38:39]
	s_cbranch_execnz .LBB12_272
.LBB12_273:                             ;   in Loop: Header=BB12_79 Depth=1
	s_or_b64 exec, exec, s[36:37]
.LBB12_274:                             ;   in Loop: Header=BB12_79 Depth=1
	v_cmp_lt_i32_e64 s[36:37], 0, v37
	s_and_saveexec_b64 s[38:39], s[14:15]
	s_cbranch_execz .LBB12_241
.LBB12_275:                             ;   in Loop: Header=BB12_79 Depth=1
	s_and_saveexec_b64 vcc, s[52:53]
	s_xor_b64 s[40:41], exec, vcc
	s_cbranch_execz .LBB12_378
; %bb.276:                              ;   in Loop: Header=BB12_79 Depth=1
	s_and_saveexec_b64 s[42:43], s[20:21]
	s_cbranch_execz .LBB12_377
; %bb.277:                              ;   in Loop: Header=BB12_79 Depth=1
	s_mov_b64 s[66:67], exec
	v_mbcnt_lo_u32_b32 v0, s66, 0
	v_mbcnt_hi_u32_b32 v0, s67, v0
	v_cmp_eq_u32_e32 vcc, 0, v0
	s_waitcnt vmcnt(0) lgkmcnt(0)
	buffer_wbinvl1_vol
	s_and_saveexec_b64 s[64:65], vcc
	s_cbranch_execz .LBB12_279
; %bb.278:                              ;   in Loop: Header=BB12_79 Depth=1
	s_bcnt1_i32_b64 vcc_lo, s[66:67]
	v_mov_b32_e32 v0, vcc_lo
	v_mov_b32_e32 v1, v16
	ds_add_u64 v0, v[0:1]
	s_trap 2
.LBB12_279:                             ;   in Loop: Header=BB12_79 Depth=1
	s_or_b64 exec, exec, s[64:65]
	s_trap 2
	ds_read_b64 v[0:1], v0
	v_add_co_u32_e32 v32, vcc, v32, v36
	v_addc_co_u32_e32 v33, vcc, 0, v33, vcc
	s_waitcnt lgkmcnt(0)
	v_cmp_lt_u64_e32 vcc, v[0:1], v[32:33]
	s_and_saveexec_b64 s[64:65], vcc
	s_cbranch_execz .LBB12_376
; %bb.280:                              ;   in Loop: Header=BB12_79 Depth=1
	s_mov_b32 s76, 0
	s_mov_b64 s[66:67], 0
                                        ; implicit-def: $sgpr68_sgpr69
                                        ; implicit-def: $sgpr70_sgpr71
	s_branch .LBB12_282
.LBB12_281:                             ;   in Loop: Header=BB12_282 Depth=2
	s_or_b64 exec, exec, s[74:75]
	s_and_b64 vcc, exec, vcc
	s_or_b64 s[66:67], vcc, s[66:67]
	s_andn2_b64 vcc, s[68:69], exec
	s_and_b64 s[68:69], s[70:71], exec
	s_or_b64 s[68:69], vcc, s[68:69]
	s_andn2_b64 exec, exec, s[66:67]
	s_cbranch_execz .LBB12_374
.LBB12_282:                             ;   Parent Loop BB12_79 Depth=1
                                        ; =>  This Inner Loop Header: Depth=2
	s_add_i32 s76, s76, 1
	s_cmpk_lg_i32 s76, 0x2710
	s_cselect_b64 s[72:73], -1, 0
	s_and_b64 vcc, exec, s[72:73]
                                        ; implicit-def: $sgpr74_sgpr75
	s_cbranch_vccnz .LBB12_284
; %bb.283:                              ;   in Loop: Header=BB12_282 Depth=2
	s_trap 2
	ds_read_b64 v[0:1], v0
	s_andn2_b64 s[72:73], s[72:73], exec
	s_mov_b32 s76, 0
	s_mov_b64 s[74:75], -1
	s_waitcnt lgkmcnt(0)
	flat_load_dword v0, v[0:1] glc
	s_waitcnt vmcnt(0) lgkmcnt(0)
	buffer_invl2
	buffer_wbinvl1_vol
	v_cmp_eq_u32_e32 vcc, 0, v0
	s_and_b64 vcc, vcc, exec
	s_or_b64 s[72:73], s[72:73], vcc
.LBB12_284:                             ;   in Loop: Header=BB12_282 Depth=2
	s_andn2_b64 s[70:71], s[70:71], exec
	s_and_b64 s[74:75], s[74:75], exec
	s_mov_b64 vcc, -1
	s_or_b64 s[70:71], s[70:71], s[74:75]
	s_and_saveexec_b64 s[74:75], s[72:73]
	s_cbranch_execz .LBB12_281
; %bb.285:                              ;   in Loop: Header=BB12_282 Depth=2
	s_sleep 1
	s_trap 2
	ds_read_b64 v[0:1], v0
	s_andn2_b64 s[70:71], s[70:71], exec
	s_waitcnt lgkmcnt(0)
	v_cmp_ge_u64_e32 vcc, v[0:1], v[32:33]
	s_orn2_b64 vcc, vcc, exec
	s_branch .LBB12_281
.LBB12_286:                             ;   in Loop: Header=BB12_79 Depth=1
	s_or_b64 exec, exec, s[66:67]
	s_and_saveexec_b64 vcc, s[68:69]
	s_xor_b64 vcc, exec, vcc
	s_cbranch_execz .LBB12_288
; %bb.287:                              ;   in Loop: Header=BB12_79 Depth=1
	ds_write_b32 v0, v47
	s_trap 2
.LBB12_288:                             ;   in Loop: Header=BB12_79 Depth=1
	s_or_b64 exec, exec, s[42:43]
	;;#ASMSTART
	s_wakeup
	;;#ASMEND
.LBB12_289:                             ;   in Loop: Header=BB12_79 Depth=1
	s_or_b64 exec, exec, s[40:41]
.LBB12_290:                             ;   in Loop: Header=BB12_79 Depth=1
	s_andn2_saveexec_b64 vcc, s[38:39]
	s_cbranch_execz .LBB12_292
; %bb.291:                              ;   in Loop: Header=BB12_79 Depth=1
	s_waitcnt vmcnt(0) lgkmcnt(0)
	buffer_wbinvl1_vol
	s_barrier
.LBB12_292:                             ;   in Loop: Header=BB12_79 Depth=1
	s_or_b64 exec, exec, vcc
.LBB12_293:                             ;   in Loop: Header=BB12_79 Depth=1
	s_or_b64 exec, exec, s[36:37]
	s_trap 2
	ds_read_b64 v[2:3], v0
	s_mov_b64 s[36:37], 0
	s_waitcnt lgkmcnt(0)
	v_readfirstlane_b32 vcc_lo, v2
	v_readfirstlane_b32 vcc_hi, v3
	s_cmp_eq_u64 vcc, 0
	s_cselect_b64 vcc, -1, 0
	s_or_b64 vcc, vcc, vcc
	s_and_b64 vcc, exec, vcc
	s_cbranch_vccnz .LBB12_327
; %bb.294:                              ;   in Loop: Header=BB12_79 Depth=1
	s_trap 2
	ds_read_b64 v[2:3], v0
	v_cmp_eq_u32_e64 s[36:37], 0, v1
	v_cndmask_b32_e64 v15, 0, v42, s[36:37]
	s_waitcnt lgkmcnt(0)
	v_cmp_ne_u64_e32 vcc, 0, v[2:3]
	s_cbranch_vccz .LBB12_333
; %bb.295:                              ;   in Loop: Header=BB12_79 Depth=1
	s_mov_b64 s[38:39], -1
	s_and_saveexec_b64 s[36:37], s[26:27]
	s_cbranch_execz .LBB12_297
; %bb.296:                              ;   in Loop: Header=BB12_79 Depth=1
	ds_read_b32 v0, v0 offset:720
	s_waitcnt lgkmcnt(0)
	v_and_b32_e32 v0, 15, v0
	v_cmp_eq_u32_e32 vcc, 0, v0
	s_orn2_b64 s[38:39], vcc, exec
.LBB12_297:                             ;   in Loop: Header=BB12_79 Depth=1
	s_or_b64 exec, exec, s[36:37]
	s_and_saveexec_b64 s[36:37], s[24:25]
	s_cbranch_execz .LBB12_299
; %bb.298:                              ;   in Loop: Header=BB12_79 Depth=1
	ds_read_b32 v0, v0 offset:784
	s_waitcnt lgkmcnt(0)
	v_and_b32_e32 v0, 15, v0
	v_cmp_eq_u32_e32 vcc, 0, v0
	s_and_b64 vcc, s[38:39], vcc
	s_andn2_b64 s[38:39], s[38:39], exec
	s_and_b64 vcc, vcc, exec
	s_or_b64 s[38:39], s[38:39], vcc
.LBB12_299:                             ;   in Loop: Header=BB12_79 Depth=1
	s_or_b64 exec, exec, s[36:37]
	s_xor_b64 vcc, s[38:39], -1
	v_cndmask_b32_e64 v0, 0, 1, vcc
	s_mov_b64 s[36:37], -1
	;;#ASMSTART
	;;#ASMEND
	v_cmp_ne_u32_e32 vcc, 0, v0
	v_mov_b32_e32 v4, 0
	v_mov_b32_e32 v3, v15
	;; [unrolled: 1-line block ×4, first 2 shown]
	s_cbranch_vccnz .LBB12_315
; %bb.300:                              ;   in Loop: Header=BB12_79 Depth=1
	v_ashrrev_i32_e32 v0, 31, v15
	v_lshrrev_b32_e32 v0, 20, v0
	v_add_u32_e32 v0, v15, v0
	v_ashrrev_i32_e32 v1, 12, v0
	v_sub_u32_e32 v0, v1, v51
	v_cmp_lt_i32_e32 vcc, 0, v0
	s_and_saveexec_b64 s[36:37], vcc
	s_cbranch_execz .LBB12_304
; %bb.301:                              ;   in Loop: Header=BB12_79 Depth=1
	v_mov_b32_e32 v5, v15
	v_mov_b32_e32 v4, v14
	s_trap 2
	ds_read_b64 v[2:3], v0
	ds_read_b128 v[12:15], v0
	s_mov_b64 s[38:39], 0
	s_waitcnt vmcnt(0) lgkmcnt(0)
	v_add_co_u32_e32 v2, vcc, v2, v18
	v_addc_co_u32_e32 v3, vcc, v3, v21, vcc
	v_add_co_u32_e32 v12, vcc, v12, v18
	v_addc_co_u32_e32 v13, vcc, v13, v21, vcc
	;; [unrolled: 2-line block ×3, first 2 shown]
.LBB12_302:                             ;   Parent Loop BB12_79 Depth=1
                                        ; =>  This Inner Loop Header: Depth=2
	global_load_dwordx4 v[18:21], v[2:3], off glc slc
	global_load_dwordx4 v[24:27], v[2:3], off offset:1024 glc slc
	global_load_dwordx4 v[48:51], v[2:3], off offset:2048 glc slc
	;; [unrolled: 1-line block ×3, first 2 shown]
	v_add_co_u32_e32 v2, vcc, v2, v17
	v_addc_co_u32_e32 v3, vcc, v3, v61, vcc
	v_sub_u32_e32 v0, v0, v36
	v_cmp_gt_i32_e32 vcc, 1, v0
	s_or_b64 s[38:39], vcc, s[38:39]
	s_waitcnt vmcnt(3)
	global_store_dwordx4 v[12:13], v[18:21], off glc slc
	s_waitcnt vmcnt(3)
	global_store_dwordx4 v[12:13], v[24:27], off offset:1024 glc slc
	s_waitcnt vmcnt(3)
	global_store_dwordx4 v[12:13], v[48:51], off offset:2048 glc slc
	;; [unrolled: 2-line block ×3, first 2 shown]
	global_store_dwordx4 v[14:15], v[18:21], off glc slc
	global_store_dwordx4 v[14:15], v[24:27], off offset:1024 glc slc
	global_store_dwordx4 v[14:15], v[48:51], off offset:2048 glc slc
	;; [unrolled: 1-line block ×3, first 2 shown]
	v_add_co_u32_e32 v12, vcc, v12, v17
	v_addc_co_u32_e32 v13, vcc, v13, v61, vcc
	v_add_co_u32_e32 v14, vcc, v14, v17
	v_addc_co_u32_e32 v15, vcc, v15, v61, vcc
	s_andn2_b64 exec, exec, s[38:39]
	s_cbranch_execnz .LBB12_302
; %bb.303:                              ;   in Loop: Header=BB12_79 Depth=1
	s_or_b64 exec, exec, s[38:39]
	buffer_load_dword v18, off, s[0:3], s33 offset:92 ; 4-byte Folded Reload
	buffer_load_dword v19, off, s[0:3], s33 offset:96 ; 4-byte Folded Reload
	;; [unrolled: 1-line block ×4, first 2 shown]
	v_accvgpr_read_b32 v53, a3
	v_accvgpr_read_b32 v24, a26
	;; [unrolled: 1-line block ×11, first 2 shown]
	v_mov_b32_e32 v14, v4
	v_mov_b32_e32 v15, v5
.LBB12_304:                             ;   in Loop: Header=BB12_79 Depth=1
	s_or_b64 exec, exec, s[36:37]
	v_lshlrev_b32_e32 v11, 12, v1
	v_cmp_ne_u32_e32 vcc, v15, v11
	s_mov_b64 s[36:37], 0
	v_mov_b32_e32 v4, 0
                                        ; implicit-def: $vgpr3
                                        ; implicit-def: $vgpr2
                                        ; implicit-def: $vgpr1
	s_and_saveexec_b64 s[66:67], vcc
	s_cbranch_execz .LBB12_314
; %bb.305:                              ;   in Loop: Header=BB12_79 Depth=1
	v_lshlrev_b32_e32 v0, 6, v0
	v_accvgpr_read_b32 v1, a32
	v_sub_u32_e32 v0, v1, v0
	v_sub_u32_e32 v2, v15, v11
	v_ashrrev_i32_e32 v1, 31, v0
	v_lshrrev_b32_e32 v1, 26, v1
	v_ashrrev_i32_e32 v4, 31, v2
	v_add_u32_e32 v1, v0, v1
	v_lshrrev_b32_e32 v4, 22, v4
	v_ashrrev_i32_e32 v3, 6, v1
	v_and_b32_e32 v1, 0xffffffc0, v1
	v_add_u32_e32 v4, v2, v4
	s_waitcnt vmcnt(0)
	v_sub_u32_e32 v19, v0, v1
	v_and_b32_e32 v20, 0xfffffc00, v4
	v_lshlrev_b32_e32 v0, 4, v19
	v_sub_u32_e32 v24, v2, v20
	v_lshl_add_u32 v1, v3, 10, v0
	v_ashrrev_i32_e32 v5, 10, v4
	v_cmp_lt_i32_e64 s[36:37], 15, v24
	v_sub_u32_e32 v0, v2, v1
	v_addc_co_u32_e64 v2, vcc, 0, v5, s[36:37]
	v_sub_u32_e32 v21, v2, v3
	v_cmp_lt_i32_e32 vcc, 15, v0
	s_and_saveexec_b64 s[68:69], vcc
	s_cbranch_execz .LBB12_311
; %bb.306:                              ;   in Loop: Header=BB12_79 Depth=1
	s_trap 2
	ds_read_b64 v[2:3], v0
	v_mov_b32_e32 v25, v15
	v_mov_b32_e32 v18, v14
	ds_read_b128 v[12:15], v0
	v_add_u32_e32 v4, v1, v11
	v_ashrrev_i32_e32 v5, 31, v4
	s_waitcnt lgkmcnt(1)
	v_add_co_u32_e32 v44, vcc, v2, v4
	v_addc_co_u32_e32 v45, vcc, v3, v5, vcc
	s_waitcnt lgkmcnt(0)
	v_add_co_u32_e32 v2, vcc, v12, v4
	v_addc_co_u32_e32 v1, vcc, v13, v5, vcc
	v_add_co_u32_e32 v10, vcc, v14, v4
	v_addc_co_u32_e32 v3, vcc, v15, v5, vcc
	s_mov_b64 s[70:71], 0
.LBB12_307:                             ;   Parent Loop BB12_79 Depth=1
                                        ; =>  This Loop Header: Depth=2
                                        ;       Child Loop BB12_308 Depth 3
	global_load_dwordx4 v[12:15], v[44:45], off glc slc
	s_mov_b64 s[74:75], -1
	s_mov_b64 s[72:73], 0
	s_waitcnt vmcnt(0)
.LBB12_308:                             ;   Parent Loop BB12_79 Depth=1
                                        ;     Parent Loop BB12_307 Depth=2
                                        ; =>    This Inner Loop Header: Depth=3
	s_cmp_eq_u32 s72, 0
	s_cselect_b64 s[38:39], -1, 0
	s_cmp_eq_u32 s72, 1
	s_cselect_b64 s[42:43], -1, 0
	v_cndmask_b32_e64 v4, 0, 1, s[74:75]
	v_cndmask_b32_e64 v26, v2, v10, s[42:43]
	v_cmp_ne_u32_e64 s[40:41], 1, v4
	v_cndmask_b32_e64 v27, v1, v3, s[42:43]
	v_add_co_u32_e32 v4, vcc, 0x400, v26
	v_addc_co_u32_e32 v5, vcc, 0, v27, vcc
	s_mov_b64 s[74:75], 0
	s_mov_b64 s[72:73], 1
	v_cndmask_b32_e64 v10, v10, v4, s[42:43]
	s_and_b64 vcc, exec, s[40:41]
	v_cndmask_b32_e64 v3, v3, v5, s[42:43]
	v_cndmask_b32_e64 v1, v1, v5, s[38:39]
	;; [unrolled: 1-line block ×3, first 2 shown]
	global_store_dwordx4 v[26:27], v[12:15], off glc slc
	s_cbranch_vccz .LBB12_308
; %bb.309:                              ;   in Loop: Header=BB12_307 Depth=2
	v_accvgpr_read_b32 v4, a24
	v_add_co_u32_e32 v2, vcc, v2, v4
	v_accvgpr_read_b32 v5, a29
	v_addc_co_u32_e32 v1, vcc, v1, v5, vcc
	v_add_co_u32_e32 v10, vcc, v10, v4
	v_addc_co_u32_e32 v3, vcc, v3, v5, vcc
	v_add_co_u32_e32 v44, vcc, v43, v44
	v_accvgpr_read_b32 v4, a34
	v_addc_co_u32_e32 v45, vcc, v4, v45, vcc
	v_sub_u32_e32 v0, v0, v50
	v_cmp_gt_i32_e32 vcc, 16, v0
	s_or_b64 s[70:71], vcc, s[70:71]
	v_sub_u32_e32 v21, v21, v36
	s_andn2_b64 exec, exec, s[70:71]
	s_cbranch_execnz .LBB12_307
; %bb.310:                              ;   in Loop: Header=BB12_79 Depth=1
	s_or_b64 exec, exec, s[70:71]
	v_accvgpr_read_b32 v45, a17
	v_accvgpr_read_b32 v44, a16
	;; [unrolled: 1-line block ×4, first 2 shown]
	v_mov_b32_e32 v14, v18
	v_mov_b32_e32 v15, v25
.LBB12_311:                             ;   in Loop: Header=BB12_79 Depth=1
	s_or_b64 exec, exec, s[68:69]
	v_and_b32_e32 v0, 15, v15
	v_cndmask_b32_e64 v3, v24, v0, s[36:37]
	v_cmp_ne_u32_e32 vcc, 0, v3
	s_mov_b64 s[38:39], 0
	v_mov_b32_e32 v4, 0
                                        ; implicit-def: $vgpr2
                                        ; implicit-def: $vgpr1
	s_and_saveexec_b64 s[40:41], vcc
	s_cbranch_execz .LBB12_313
; %bb.312:                              ;   in Loop: Header=BB12_79 Depth=1
	v_sub_u32_e32 v0, v24, v0
	v_cndmask_b32_e64 v0, 0, v0, s[36:37]
	v_cmp_lt_i32_e32 vcc, 0, v21
	v_add3_u32 v4, v20, v11, v0
	v_cndmask_b32_e32 v0, 0, v36, vcc
	v_sub_u32_e32 v0, v0, v21
	v_lshl_add_u32 v2, v0, 6, v19
	v_ashrrev_i32_e32 v0, 31, v2
	v_lshrrev_b32_e32 v0, 26, v0
	v_add_u32_e32 v0, v2, v0
	s_mov_b64 s[38:39], exec
	v_ashrrev_i32_e32 v1, 6, v0
.LBB12_313:                             ;   in Loop: Header=BB12_79 Depth=1
	s_or_b64 exec, exec, s[40:41]
	buffer_load_dword v18, off, s[0:3], s33 offset:92 ; 4-byte Folded Reload
	buffer_load_dword v19, off, s[0:3], s33 offset:96 ; 4-byte Folded Reload
	;; [unrolled: 1-line block ×4, first 2 shown]
	v_accvgpr_read_b32 v24, a26
	s_and_b64 s[36:37], s[38:39], exec
	v_accvgpr_read_b32 v25, a27
.LBB12_314:                             ;   in Loop: Header=BB12_79 Depth=1
	s_or_b64 exec, exec, s[66:67]
.LBB12_315:                             ;   in Loop: Header=BB12_79 Depth=1
	s_and_saveexec_b64 s[40:41], s[36:37]
	s_cbranch_execz .LBB12_326
; %bb.316:                              ;   in Loop: Header=BB12_79 Depth=1
	v_ashrrev_i32_e32 v0, 31, v3
	v_lshrrev_b32_e32 v0, 21, v0
	v_add_u32_e32 v0, v3, v0
	v_ashrrev_i32_e32 v0, 11, v0
	v_sub_u32_e32 v49, v0, v1
	v_cmp_lt_i32_e32 vcc, 0, v49
	v_ashrrev_i32_e32 v5, 31, v2
	s_and_saveexec_b64 s[36:37], vcc
	s_cbranch_execz .LBB12_320
; %bb.317:                              ;   in Loop: Header=BB12_79 Depth=1
	v_accvgpr_write_b32 a39, v0
	v_lshrrev_b32_e32 v0, 26, v5
	v_add_u32_e32 v0, v2, v0
	v_and_b32_e32 v0, 0xffffffc0, v0
	v_sub_u32_e32 v0, v2, v0
	v_mov_b32_e32 v60, v15
	v_accvgpr_write_b32 a18, v14
	s_trap 2
	ds_read_b64 v[14:15], v0
	ds_read_b128 v[10:13], v0
	v_lshlrev_b32_e32 v1, 11, v1
	v_add3_u32 v0, v4, v0, v1
	v_accvgpr_write_b32 a37, v2
	v_ashrrev_i32_e32 v1, 31, v0
	s_waitcnt lgkmcnt(0)
	v_add_co_u32_e32 v2, vcc, v10, v0
	v_accvgpr_write_b32 a36, v3
	v_addc_co_u32_e32 v3, vcc, v11, v1, vcc
	v_add_co_u32_e32 v12, vcc, v12, v0
	v_addc_co_u32_e32 v13, vcc, v13, v1, vcc
	v_accvgpr_write_b32 a35, v4
	v_add_co_u32_e32 v4, vcc, 0x7c0, v14
	v_accvgpr_write_b32 a38, v5
	v_addc_co_u32_e32 v5, vcc, 0, v15, vcc
	v_add_co_u32_e32 v14, vcc, v4, v0
	v_accvgpr_write_b32 a4, v16
	v_addc_co_u32_e32 v15, vcc, v5, v1, vcc
	s_mov_b64 s[38:39], 0
	v_mov_b32_e32 v58, v36
.LBB12_318:                             ;   Parent Loop BB12_79 Depth=1
                                        ; =>  This Inner Loop Header: Depth=2
	v_add_co_u32_e32 v44, vcc, 0xfffff840, v14
	v_addc_co_u32_e32 v45, vcc, -1, v15, vcc
	v_add_co_u32_e32 v0, vcc, 0xfffff880, v14
	v_addc_co_u32_e32 v1, vcc, -1, v15, vcc
	;; [unrolled: 2-line block ×3, first 2 shown]
	flat_load_ubyte v44, v[44:45] glc slc
	v_sub_u32_e32 v49, v49, v58
	flat_load_ubyte v45, v[0:1] glc slc
	v_add_co_u32_e32 v0, vcc, 0xfffff900, v14
	v_addc_co_u32_e32 v1, vcc, -1, v15, vcc
	s_waitcnt vmcnt(0)
	v_add_co_u32_e32 v18, vcc, 0xfffff940, v14
	v_addc_co_u32_e32 v19, vcc, -1, v15, vcc
	flat_load_ubyte v50, v[0:1] glc slc
	v_add_co_u32_e32 v0, vcc, 0xfffff980, v14
	v_addc_co_u32_e32 v1, vcc, -1, v15, vcc
	flat_load_ubyte v24, v[18:19] glc slc
	;; [unrolled: 3-line block ×11, first 2 shown]
	v_add_co_u32_e32 v0, vcc, s81, v14
	flat_load_ubyte v52, v[14:15] glc slc
	v_addc_co_u32_e32 v1, vcc, -1, v15, vcc
	flat_load_ubyte v48, v[18:19] glc slc
	v_add_co_u32_e32 v18, vcc, 0xfffffc40, v14
	v_addc_co_u32_e32 v19, vcc, -1, v15, vcc
	flat_load_ubyte v11, v[10:11] glc slc
	s_nop 0
	flat_load_ubyte v47, v[0:1] glc slc
	v_add_co_u32_e32 v0, vcc, 0xfffffc80, v14
	v_addc_co_u32_e32 v1, vcc, -1, v15, vcc
	v_add_co_u32_e32 v26, vcc, 0xfffffcc0, v14
	v_addc_co_u32_e32 v27, vcc, -1, v15, vcc
	flat_load_ubyte v30, v[18:19] glc slc
	flat_load_ubyte v41, v[26:27] glc slc
	s_nop 0
	flat_load_ubyte v19, v[0:1] glc slc
	v_add_co_u32_e32 v0, vcc, 0xfffffd00, v14
	v_addc_co_u32_e32 v1, vcc, -1, v15, vcc
	v_add_co_u32_e32 v26, vcc, 0xfffffd40, v14
	v_addc_co_u32_e32 v27, vcc, -1, v15, vcc
	flat_load_ubyte v53, v[0:1] glc slc
	v_add_co_u32_e32 v0, vcc, 0xfffffd80, v14
	v_addc_co_u32_e32 v1, vcc, -1, v15, vcc
	v_add_co_u32_e32 v16, vcc, 0xfffffdc0, v14
	v_addc_co_u32_e32 v17, vcc, -1, v15, vcc
	flat_load_ubyte v26, v[26:27] glc slc
	s_nop 0
	flat_load_ubyte v27, v[0:1] glc slc
	v_add_co_u32_e32 v0, vcc, 0xfffffe00, v14
	v_addc_co_u32_e32 v1, vcc, -1, v15, vcc
	flat_load_ubyte v25, v[16:17] glc slc
	v_add_co_u32_e32 v16, vcc, 0xfffffe40, v14
	v_addc_co_u32_e32 v17, vcc, -1, v15, vcc
	v_add_co_u32_e32 v4, vcc, 0xfffffe80, v14
	v_addc_co_u32_e32 v5, vcc, -1, v15, vcc
	flat_load_ubyte v18, v[16:17] glc slc
	v_add_co_u32_e32 v16, vcc, 0xfffffec0, v14
	v_addc_co_u32_e32 v17, vcc, -1, v15, vcc
	flat_load_ubyte v37, v[4:5] glc slc
	v_add_co_u32_e32 v4, vcc, 0xffffff00, v14
	flat_load_ubyte v0, v[0:1] glc slc
	v_addc_co_u32_e32 v5, vcc, -1, v15, vcc
	flat_load_ubyte v51, v[16:17] glc slc
	v_add_co_u32_e32 v16, vcc, 0xffffff40, v14
	v_addc_co_u32_e32 v17, vcc, -1, v15, vcc
	flat_load_ubyte v40, v[4:5] glc slc
	v_add_co_u32_e32 v4, vcc, 0xffffff80, v14
	;; [unrolled: 3-line block ×3, first 2 shown]
	flat_load_ubyte v43, v[4:5] glc slc
	v_addc_co_u32_e32 v17, vcc, -1, v15, vcc
	flat_load_ubyte v10, v[16:17] glc slc
	v_cmp_gt_i32_e32 vcc, 1, v49
	s_or_b64 s[38:39], vcc, s[38:39]
	v_add_co_u32_e32 v14, vcc, v14, v59
	v_addc_co_u32_e32 v15, vcc, v15, v62, vcc
	s_waitcnt vmcnt(0) lgkmcnt(0)
	flat_store_byte v[2:3], v52 offset:1984 glc slc
	flat_store_byte v[2:3], v44 glc slc
	flat_store_byte v[2:3], v45 offset:64 glc slc
	flat_store_byte v[2:3], v11 offset:128 glc slc
	;; [unrolled: 1-line block ×30, first 2 shown]
	flat_store_byte v[12:13], v44 glc slc
	flat_store_byte v[12:13], v45 offset:64 glc slc
	flat_store_byte v[12:13], v11 offset:128 glc slc
	;; [unrolled: 1-line block ×31, first 2 shown]
	v_add_co_u32_e32 v2, vcc, v2, v59
	v_addc_co_u32_e32 v3, vcc, v3, v62, vcc
	v_add_co_u32_e32 v12, vcc, v12, v59
	v_addc_co_u32_e32 v13, vcc, v13, v62, vcc
	s_andn2_b64 exec, exec, s[38:39]
	s_cbranch_execnz .LBB12_318
; %bb.319:                              ;   in Loop: Header=BB12_79 Depth=1
	s_or_b64 exec, exec, s[38:39]
	buffer_load_dword v18, off, s[0:3], s33 offset:92 ; 4-byte Folded Reload
	buffer_load_dword v19, off, s[0:3], s33 offset:96 ; 4-byte Folded Reload
	buffer_load_dword v20, off, s[0:3], s33 offset:100 ; 4-byte Folded Reload
	buffer_load_dword v21, off, s[0:3], s33 offset:104 ; 4-byte Folded Reload
	v_accvgpr_read_b32 v41, a1
	v_accvgpr_read_b32 v53, a3
	;; [unrolled: 1-line block ×12, first 2 shown]
	v_mov_b32_e32 v36, v58
	v_accvgpr_read_b32 v29, a19
	v_mov_b32_e32 v47, 1
	v_accvgpr_read_b32 v48, a20
	v_accvgpr_read_b32 v50, a21
	;; [unrolled: 1-line block ×11, first 2 shown]
	v_mov_b32_e32 v15, v60
	v_accvgpr_read_b32 v4, a35
	v_accvgpr_read_b32 v3, a36
	;; [unrolled: 1-line block ×5, first 2 shown]
.LBB12_320:                             ;   in Loop: Header=BB12_79 Depth=1
	s_or_b64 exec, exec, s[36:37]
	v_lshlrev_b32_e32 v0, 11, v0
	v_cmp_ne_u32_e32 vcc, v3, v0
	s_and_b64 exec, exec, vcc
	s_cbranch_execz .LBB12_326
; %bb.321:                              ;   in Loop: Header=BB12_79 Depth=1
	v_lshrrev_b32_e32 v1, 26, v5
	v_add_u32_e32 v1, v2, v1
	v_and_b32_e32 v1, 0xffffffc0, v1
	v_sub_u32_e32 v1, v2, v1
	v_lshlrev_b32_e32 v2, 6, v49
	v_sub_u32_e32 v1, v1, v2
	v_add_u32_e32 v1, v0, v1
	v_sub_u32_e32 v0, v3, v1
	v_cmp_lt_i32_e32 vcc, 0, v0
	s_and_b64 exec, exec, vcc
	s_cbranch_execz .LBB12_326
; %bb.322:                              ;   in Loop: Header=BB12_79 Depth=1
	s_trap 2
	ds_read_b64 v[2:3], v0
	s_waitcnt vmcnt(0)
	ds_read_b128 v[18:21], v0
	v_add_u32_e32 v4, v1, v4
	v_ashrrev_i32_e32 v5, 31, v4
	s_mov_b64 s[42:43], 0
	s_waitcnt lgkmcnt(0)
	v_add_co_u32_e32 v12, vcc, v2, v4
	v_addc_co_u32_e32 v13, vcc, v3, v5, vcc
	v_add_co_u32_e32 v2, vcc, v18, v4
	v_addc_co_u32_e32 v1, vcc, v19, v5, vcc
	;; [unrolled: 2-line block ×3, first 2 shown]
	buffer_load_dword v20, off, s[0:3], s33 offset:100 ; 4-byte Folded Reload
	buffer_load_dword v21, off, s[0:3], s33 offset:104 ; 4-byte Folded Reload
	;; [unrolled: 1-line block ×4, first 2 shown]
.LBB12_323:                             ;   Parent Loop BB12_79 Depth=1
                                        ; =>  This Loop Header: Depth=2
                                        ;       Child Loop BB12_324 Depth 3
	flat_load_ubyte v11, v[12:13] glc slc
	s_mov_b64 s[66:67], -1
	s_mov_b64 s[68:69], 0
	s_waitcnt vmcnt(0)
.LBB12_324:                             ;   Parent Loop BB12_79 Depth=1
                                        ;     Parent Loop BB12_323 Depth=2
                                        ; =>    This Inner Loop Header: Depth=3
	s_cmp_eq_u32 s68, 1
	s_cselect_b64 vcc, -1, 0
	v_cndmask_b32_e32 v5, v1, v3, vcc
	v_cndmask_b32_e32 v4, v2, v10, vcc
	s_waitcnt lgkmcnt(0)
	flat_store_byte v[4:5], v11 glc slc
	v_add_co_u32_e64 v4, s[36:37], 64, v4
	s_cmp_eq_u32 s68, 0
	v_addc_co_u32_e64 v5, s[36:37], 0, v5, s[36:37]
	s_cselect_b64 s[36:37], -1, 0
	s_and_b64 s[38:39], exec, s[66:67]
	s_mov_b64 s[68:69], 1
	s_mov_b64 s[66:67], 0
	v_cndmask_b32_e32 v3, v3, v5, vcc
	v_cndmask_b32_e32 v10, v10, v4, vcc
	v_cndmask_b32_e64 v1, v1, v5, s[36:37]
	v_cndmask_b32_e64 v2, v2, v4, s[36:37]
	s_mov_b64 vcc, s[38:39]
	s_cbranch_vccnz .LBB12_324
; %bb.325:                              ;   in Loop: Header=BB12_323 Depth=2
	v_add_co_u32_e32 v2, vcc, v2, v54
	v_addc_co_u32_e32 v1, vcc, v1, v27, vcc
	v_add_co_u32_e32 v10, vcc, v10, v54
	v_addc_co_u32_e32 v3, vcc, v3, v27, vcc
	v_sub_u32_e32 v0, v0, v29
	v_cmp_gt_i32_e32 vcc, 1, v0
	s_or_b64 s[42:43], vcc, s[42:43]
	v_add_co_u32_e32 v12, vcc, v55, v12
	v_addc_co_u32_e32 v13, vcc, v26, v13, vcc
	s_andn2_b64 exec, exec, s[42:43]
	s_cbranch_execnz .LBB12_323
.LBB12_326:                             ;   in Loop: Header=BB12_79 Depth=1
	s_or_b64 exec, exec, s[40:41]
	s_branch .LBB12_362
.LBB12_327:                             ;   in Loop: Header=BB12_79 Depth=1
	s_and_saveexec_b64 s[38:39], s[14:15]
	s_cbranch_execnz .LBB12_363
.LBB12_328:                             ;   in Loop: Header=BB12_79 Depth=1
	s_or_b64 exec, exec, s[38:39]
                                        ; implicit-def: $vgpr0
	s_and_saveexec_b64 vcc, s[28:29]
	s_xor_b64 s[38:39], exec, vcc
	s_cbranch_execz .LBB12_400
.LBB12_329:                             ;   in Loop: Header=BB12_79 Depth=1
	v_and_b32_e32 v1, 16, v46
	v_cmp_ne_u32_e32 vcc, 0, v1
	v_and_b32_e32 v0, 16, v46
	s_and_b64 s[36:37], vcc, s[36:37]
	s_and_saveexec_b64 vcc, s[36:37]
	s_cbranch_execz .LBB12_331
; %bb.330:                              ;   in Loop: Header=BB12_79 Depth=1
	v_mov_b32_e32 v0, 1
	s_waitcnt vmcnt(0) lgkmcnt(0)
	buffer_wbinvl1_vol
.LBB12_331:                             ;   in Loop: Header=BB12_79 Depth=1
	s_or_b64 exec, exec, vcc
	s_andn2_saveexec_b64 s[36:37], s[38:39]
	s_cbranch_execnz .LBB12_401
.LBB12_332:                             ;   in Loop: Header=BB12_79 Depth=1
	s_or_b64 exec, exec, s[36:37]
	v_cmp_ne_u32_e32 vcc, 0, v0
	s_and_saveexec_b64 s[36:37], vcc
	s_cbranch_execnz .LBB12_474
	s_branch .LBB12_477
.LBB12_333:                             ;   in Loop: Header=BB12_79 Depth=1
	s_cbranch_execz .LBB12_362
; %bb.334:                              ;   in Loop: Header=BB12_79 Depth=1
	s_mov_b64 s[36:37], -1
	s_and_saveexec_b64 s[38:39], s[26:27]
	s_cbranch_execz .LBB12_336
; %bb.335:                              ;   in Loop: Header=BB12_79 Depth=1
	ds_read_b32 v0, v0 offset:720
	s_waitcnt lgkmcnt(0)
	v_and_b32_e32 v0, 15, v0
	v_cmp_eq_u32_e32 vcc, 0, v0
	s_orn2_b64 s[36:37], vcc, exec
.LBB12_336:                             ;   in Loop: Header=BB12_79 Depth=1
	s_or_b64 exec, exec, s[38:39]
	s_and_saveexec_b64 s[38:39], s[26:27]
	s_cbranch_execz .LBB12_338
; %bb.337:                              ;   in Loop: Header=BB12_79 Depth=1
	ds_read_b32 v0, v0 offset:784
	s_waitcnt lgkmcnt(0)
	v_and_b32_e32 v0, 15, v0
	v_cmp_eq_u32_e32 vcc, 0, v0
	s_and_b64 vcc, s[36:37], vcc
	s_andn2_b64 s[36:37], s[36:37], exec
	s_and_b64 vcc, vcc, exec
	s_or_b64 s[36:37], s[36:37], vcc
.LBB12_338:                             ;   in Loop: Header=BB12_79 Depth=1
	s_or_b64 exec, exec, s[38:39]
	s_xor_b64 vcc, s[36:37], -1
	v_cndmask_b32_e64 v0, 0, 1, vcc
	s_mov_b64 s[40:41], -1
	;;#ASMSTART
	;;#ASMEND
	v_cmp_ne_u32_e32 vcc, 0, v0
	v_mov_b32_e32 v58, 0
	v_mov_b32_e32 v49, v15
	;; [unrolled: 1-line block ×4, first 2 shown]
	s_cbranch_vccnz .LBB12_352
; %bb.339:                              ;   in Loop: Header=BB12_79 Depth=1
	v_ashrrev_i32_e32 v0, 31, v15
	v_lshrrev_b32_e32 v0, 20, v0
	v_add_u32_e32 v0, v15, v0
	v_ashrrev_i32_e32 v0, 12, v0
	v_sub_u32_e32 v1, v0, v51
	v_cmp_lt_i32_e32 vcc, 0, v1
	s_and_saveexec_b64 s[36:37], vcc
	s_cbranch_execz .LBB12_343
; %bb.340:                              ;   in Loop: Header=BB12_79 Depth=1
	s_trap 2
	ds_read_b64 v[2:3], v0
	s_mov_b64 s[38:39], 0
	s_waitcnt lgkmcnt(0)
	v_pk_mov_b32 v[12:13], v[2:3], v[2:3] op_sel:[0,1]
.LBB12_341:                             ;   Parent Loop BB12_79 Depth=1
                                        ; =>  This Inner Loop Header: Depth=2
	s_waitcnt vmcnt(0)
	v_add_co_u32_e32 v10, vcc, v18, v12
	v_addc_co_u32_e32 v11, vcc, v21, v13, vcc
	global_load_dwordx4 v[18:21], v[10:11], off glc slc
	global_load_dwordx4 v[24:27], v[10:11], off offset:1024 glc slc
	global_load_dwordx4 v[48:51], v[10:11], off offset:2048 glc slc
	;; [unrolled: 1-line block ×3, first 2 shown]
	buffer_load_dword v4, off, s[0:3], s33 offset:92 ; 4-byte Folded Reload
	buffer_load_dword v5, off, s[0:3], s33 offset:96 ; 4-byte Folded Reload
	v_sub_u32_e32 v1, v1, v36
	s_waitcnt vmcnt(1)
	v_add_co_u32_e32 v10, vcc, v4, v2
	buffer_load_dword v4, off, s[0:3], s33 offset:100 ; 4-byte Folded Reload
	buffer_load_dword v5, off, s[0:3], s33 offset:104 ; 4-byte Folded Reload
	s_waitcnt vmcnt(0)
	v_addc_co_u32_e32 v11, vcc, v5, v3, vcc
	global_store_dwordx4 v[10:11], v[18:21], off glc slc
	buffer_load_dword v20, off, s[0:3], s33 offset:100 ; 4-byte Folded Reload
	s_nop 0
	buffer_load_dword v21, off, s[0:3], s33 offset:104 ; 4-byte Folded Reload
	buffer_load_dword v18, off, s[0:3], s33 offset:92 ; 4-byte Folded Reload
	buffer_load_dword v19, off, s[0:3], s33 offset:96 ; 4-byte Folded Reload
	v_add_co_u32_e32 v12, vcc, v12, v17
	v_addc_co_u32_e32 v13, vcc, v13, v61, vcc
	v_add_co_u32_e32 v2, vcc, v2, v17
	v_addc_co_u32_e32 v3, vcc, v3, v61, vcc
	v_cmp_gt_i32_e32 vcc, 1, v1
	s_or_b64 s[38:39], vcc, s[38:39]
	global_store_dwordx4 v[10:11], v[24:27], off offset:1024 glc slc
	global_store_dwordx4 v[10:11], v[48:51], off offset:2048 glc slc
	;; [unrolled: 1-line block ×3, first 2 shown]
	s_andn2_b64 exec, exec, s[38:39]
	s_cbranch_execnz .LBB12_341
; %bb.342:                              ;   in Loop: Header=BB12_79 Depth=1
	s_or_b64 exec, exec, s[38:39]
	v_accvgpr_read_b32 v53, a3
	v_accvgpr_read_b32 v24, a26
	;; [unrolled: 1-line block ×11, first 2 shown]
.LBB12_343:                             ;   in Loop: Header=BB12_79 Depth=1
	s_or_b64 exec, exec, s[36:37]
	v_lshlrev_b32_e32 v0, 12, v0
	v_cmp_ne_u32_e32 vcc, v15, v0
	s_mov_b64 s[40:41], 0
	v_mov_b32_e32 v58, 0
                                        ; implicit-def: $vgpr49
                                        ; implicit-def: $vgpr11
                                        ; implicit-def: $vgpr10
	s_and_saveexec_b64 s[38:39], vcc
	s_cbranch_execz .LBB12_351
; %bb.344:                              ;   in Loop: Header=BB12_79 Depth=1
	v_lshlrev_b32_e32 v1, 6, v1
	v_accvgpr_read_b32 v3, a32
	v_sub_u32_e32 v1, v3, v1
	v_ashrrev_i32_e32 v3, 31, v1
	v_lshrrev_b32_e32 v3, 26, v3
	v_add_u32_e32 v3, v1, v3
	v_sub_u32_e32 v2, v15, v0
	v_ashrrev_i32_e32 v4, 6, v3
	v_and_b32_e32 v3, 0xffffffc0, v3
	v_sub_u32_e32 v12, v1, v3
	v_ashrrev_i32_e32 v3, 31, v2
	v_lshrrev_b32_e32 v3, 22, v3
	v_add_u32_e32 v3, v2, v3
	v_and_b32_e32 v13, 0xfffffc00, v3
	v_accvgpr_write_b32 a4, v15
	v_lshlrev_b32_e32 v1, 4, v12
	v_sub_u32_e32 v15, v2, v13
	v_lshl_add_u32 v1, v4, 10, v1
	v_ashrrev_i32_e32 v5, 10, v3
	v_cmp_lt_i32_e32 vcc, 15, v15
	v_sub_u32_e32 v11, v2, v1
	v_addc_co_u32_e64 v2, s[36:37], 0, v5, vcc
	v_mov_b32_e32 v37, v14
	v_sub_u32_e32 v14, v2, v4
	v_cmp_lt_i32_e64 s[36:37], 15, v11
	s_mov_b64 s[40:41], exec
	s_and_b64 s[36:37], s[40:41], s[36:37]
	v_accvgpr_read_b32 v4, a34
	s_mov_b64 exec, s[36:37]
	s_cbranch_execz .LBB12_348
; %bb.345:                              ;   in Loop: Header=BB12_79 Depth=1
	s_trap 2
	ds_read_b64 v[2:3], v0
	v_add_u32_e32 v10, v1, v0
	v_ashrrev_i32_e32 v1, 31, v10
	s_mov_b64 s[42:43], 0
.LBB12_346:                             ;   Parent Loop BB12_79 Depth=1
                                        ; =>  This Inner Loop Header: Depth=2
	s_waitcnt lgkmcnt(0)
	v_add_co_u32_e64 v24, s[36:37], v2, v10
	v_addc_co_u32_e64 v25, s[36:37], v3, v1, s[36:37]
	global_load_dwordx4 v[18:21], v[24:25], off glc slc
	v_add_co_u32_e64 v10, s[36:37], v10, v43
	v_sub_u32_e32 v11, v11, v50
	v_addc_co_u32_e64 v1, s[36:37], v1, v4, s[36:37]
	v_cmp_gt_i32_e64 s[36:37], 16, v11
	v_sub_u32_e32 v14, v14, v36
	s_or_b64 s[42:43], s[36:37], s[42:43]
	s_waitcnt vmcnt(0)
	global_store_dwordx4 v[24:25], v[18:21], off glc slc
	s_andn2_b64 exec, exec, s[42:43]
	s_cbranch_execnz .LBB12_346
; %bb.347:                              ;   in Loop: Header=BB12_79 Depth=1
	s_or_b64 exec, exec, s[42:43]
	buffer_load_dword v18, off, s[0:3], s33 offset:92 ; 4-byte Folded Reload
	buffer_load_dword v19, off, s[0:3], s33 offset:96 ; 4-byte Folded Reload
	;; [unrolled: 1-line block ×4, first 2 shown]
	v_accvgpr_read_b32 v24, a26
	v_accvgpr_read_b32 v25, a27
.LBB12_348:                             ;   in Loop: Header=BB12_79 Depth=1
	s_or_b64 exec, exec, s[40:41]
	v_accvgpr_read_b32 v1, a4
	v_and_b32_e32 v1, 15, v1
	v_cndmask_b32_e32 v49, v15, v1, vcc
	v_cmp_ne_u32_e64 s[36:37], 0, v49
	s_mov_b64 s[40:41], 0
	v_mov_b32_e32 v58, 0
                                        ; implicit-def: $vgpr11
                                        ; implicit-def: $vgpr10
	s_and_saveexec_b64 s[42:43], s[36:37]
	s_cbranch_execz .LBB12_350
; %bb.349:                              ;   in Loop: Header=BB12_79 Depth=1
	v_sub_u32_e32 v1, v15, v1
	v_cndmask_b32_e32 v1, 0, v1, vcc
	v_cmp_lt_i32_e32 vcc, 0, v14
	v_add3_u32 v58, v13, v0, v1
	v_cndmask_b32_e32 v0, 0, v36, vcc
	v_sub_u32_e32 v0, v0, v14
	v_lshl_add_u32 v11, v0, 6, v12
	v_ashrrev_i32_e32 v0, 31, v11
	v_lshrrev_b32_e32 v0, 26, v0
	v_add_u32_e32 v0, v11, v0
	s_mov_b64 s[40:41], exec
	v_ashrrev_i32_e32 v10, 6, v0
.LBB12_350:                             ;   in Loop: Header=BB12_79 Depth=1
	s_or_b64 exec, exec, s[42:43]
	s_and_b64 s[40:41], s[40:41], exec
	v_mov_b32_e32 v14, v37
	v_accvgpr_read_b32 v15, a4
.LBB12_351:                             ;   in Loop: Header=BB12_79 Depth=1
	s_or_b64 exec, exec, s[38:39]
.LBB12_352:                             ;   in Loop: Header=BB12_79 Depth=1
	s_and_saveexec_b64 s[36:37], s[40:41]
	s_cbranch_execz .LBB12_361
; %bb.353:                              ;   in Loop: Header=BB12_79 Depth=1
	v_ashrrev_i32_e32 v0, 31, v49
	v_lshrrev_b32_e32 v0, 21, v0
	v_add_u32_e32 v0, v49, v0
	v_ashrrev_i32_e32 v0, 11, v0
	s_waitcnt vmcnt(0)
	v_sub_u32_e32 v19, v0, v10
	v_cmp_lt_i32_e32 vcc, 0, v19
	s_and_saveexec_b64 s[38:39], vcc
	s_cbranch_execz .LBB12_357
; %bb.354:                              ;   in Loop: Header=BB12_79 Depth=1
	v_ashrrev_i32_e32 v1, 31, v11
	s_trap 2
	ds_read_b64 v[2:3], v0
	v_lshrrev_b32_e32 v1, 26, v1
	v_add_u32_e32 v1, v11, v1
	v_and_b32_e32 v1, 0xffffffc0, v1
	v_sub_u32_e32 v1, v11, v1
	v_lshlrev_b32_e32 v4, 11, v10
	v_add3_u32 v10, v58, v1, v4
	v_accvgpr_write_b32 a36, v0
	v_accvgpr_write_b32 a35, v15
	;; [unrolled: 1-line block ×4, first 2 shown]
	v_ashrrev_i32_e32 v1, 31, v10
	s_mov_b64 s[40:41], 0
	s_waitcnt lgkmcnt(0)
	v_pk_mov_b32 v[12:13], v[2:3], v[2:3] op_sel:[0,1]
	v_mov_b32_e32 v60, v36
.LBB12_355:                             ;   Parent Loop BB12_79 Depth=1
                                        ; =>  This Inner Loop Header: Depth=2
	v_add_co_u32_e32 v14, vcc, v10, v12
	v_addc_co_u32_e32 v15, vcc, v1, v13, vcc
	flat_load_ubyte v4, v[14:15] glc slc
	flat_load_ubyte v5, v[14:15] offset:64 glc slc
	flat_load_ubyte v16, v[14:15] offset:128 glc slc
	;; [unrolled: 1-line block ×31, first 2 shown]
	v_add_co_u32_e32 v14, vcc, v10, v2
	v_addc_co_u32_e32 v15, vcc, v1, v3, vcc
	v_add_co_u32_e32 v12, vcc, v12, v59
	v_addc_co_u32_e32 v13, vcc, v13, v62, vcc
	v_add_co_u32_e32 v2, vcc, v2, v59
	v_sub_u32_e32 v19, v19, v60
	v_addc_co_u32_e32 v3, vcc, v3, v62, vcc
	v_cmp_gt_i32_e32 vcc, 1, v19
	s_or_b64 s[40:41], vcc, s[40:41]
	s_waitcnt vmcnt(0) lgkmcnt(0)
	flat_store_byte v[14:15], v4 glc slc
	flat_store_byte v[14:15], v5 offset:64 glc slc
	flat_store_byte v[14:15], v16 offset:128 glc slc
	flat_store_byte v[14:15], v17 offset:192 glc slc
	flat_store_byte v[14:15], v18 offset:256 glc slc
	flat_store_byte v[14:15], v20 offset:320 glc slc
	flat_store_byte v[14:15], v21 offset:384 glc slc
	flat_store_byte v[14:15], v24 offset:448 glc slc
	flat_store_byte v[14:15], v25 offset:512 glc slc
	flat_store_byte v[14:15], v26 offset:576 glc slc
	flat_store_byte v[14:15], v27 offset:640 glc slc
	flat_store_byte v[14:15], v28 offset:704 glc slc
	flat_store_byte v[14:15], v29 offset:768 glc slc
	flat_store_byte v[14:15], v30 offset:832 glc slc
	flat_store_byte v[14:15], v36 offset:896 glc slc
	flat_store_byte v[14:15], v37 offset:960 glc slc
	flat_store_byte v[14:15], v48 offset:1024 glc slc
	flat_store_byte v[14:15], v50 offset:1088 glc slc
	flat_store_byte v[14:15], v51 offset:1152 glc slc
	flat_store_byte v[14:15], v52 offset:1216 glc slc
	flat_store_byte v[14:15], v53 offset:1280 glc slc
	flat_store_byte v[14:15], v54 offset:1344 glc slc
	flat_store_byte v[14:15], v55 offset:1408 glc slc
	flat_store_byte v[14:15], v40 offset:1472 glc slc
	flat_store_byte v[14:15], v41 offset:1536 glc slc
	flat_store_byte v[14:15], v43 offset:1600 glc slc
	flat_store_byte v[14:15], v44 offset:1664 glc slc
	flat_store_byte v[14:15], v45 offset:1728 glc slc
	flat_store_byte v[14:15], v47 offset:1792 glc slc
	flat_store_byte v[14:15], v56 offset:1856 glc slc
	flat_store_byte v[14:15], v57 offset:1920 glc slc
	flat_store_byte v[14:15], v0 offset:1984 glc slc
	s_andn2_b64 exec, exec, s[40:41]
	s_cbranch_execnz .LBB12_355
; %bb.356:                              ;   in Loop: Header=BB12_79 Depth=1
	s_or_b64 exec, exec, s[40:41]
	buffer_load_dword v0, off, s[0:3], s33 offset:92 ; 4-byte Folded Reload
	buffer_load_dword v1, off, s[0:3], s33 offset:96 ; 4-byte Folded Reload
	;; [unrolled: 1-line block ×4, first 2 shown]
	v_accvgpr_read_b32 v41, a1
	v_accvgpr_read_b32 v53, a3
	;; [unrolled: 1-line block ×12, first 2 shown]
	v_mov_b32_e32 v36, v60
	v_accvgpr_read_b32 v29, a19
	v_mov_b32_e32 v47, 1
	v_accvgpr_read_b32 v48, a20
	v_accvgpr_read_b32 v50, a21
	v_accvgpr_read_b32 v54, a22
	v_accvgpr_read_b32 v27, a23
	v_accvgpr_read_b32 v25, a27
	v_accvgpr_read_b32 v51, a25
	v_accvgpr_read_b32 v17, a28
	v_accvgpr_read_b32 v55, a30
	v_accvgpr_read_b32 v26, a31
	v_accvgpr_read_b32 v43, a33
	v_accvgpr_read_b32 v14, a18
	v_accvgpr_read_b32 v15, a35
	s_waitcnt vmcnt(0)
	v_mov_b32_e32 v18, v0
	v_accvgpr_read_b32 v0, a36
.LBB12_357:                             ;   in Loop: Header=BB12_79 Depth=1
	s_or_b64 exec, exec, s[38:39]
	v_lshlrev_b32_e32 v0, 11, v0
	v_cmp_ne_u32_e32 vcc, v49, v0
	s_and_b64 exec, exec, vcc
	s_cbranch_execz .LBB12_361
; %bb.358:                              ;   in Loop: Header=BB12_79 Depth=1
	v_ashrrev_i32_e32 v1, 31, v11
	v_lshrrev_b32_e32 v1, 26, v1
	v_add_u32_e32 v1, v11, v1
	v_and_b32_e32 v1, 0xffffffc0, v1
	v_sub_u32_e32 v1, v11, v1
	v_lshlrev_b32_e32 v2, 6, v19
	v_sub_u32_e32 v1, v1, v2
	v_add_u32_e32 v1, v0, v1
	v_sub_u32_e32 v0, v49, v1
	v_cmp_lt_i32_e32 vcc, 0, v0
	s_and_b64 exec, exec, vcc
	s_cbranch_execz .LBB12_361
; %bb.359:                              ;   in Loop: Header=BB12_79 Depth=1
	s_trap 2
	ds_read_b64 v[2:3], v0
	v_add_u32_e32 v10, v1, v58
	v_ashrrev_i32_e32 v1, 31, v10
	s_mov_b64 s[38:39], 0
.LBB12_360:                             ;   Parent Loop BB12_79 Depth=1
                                        ; =>  This Inner Loop Header: Depth=2
	s_waitcnt lgkmcnt(0)
	v_add_co_u32_e32 v12, vcc, v2, v10
	v_addc_co_u32_e32 v13, vcc, v3, v1, vcc
	flat_load_ubyte v4, v[12:13] glc slc
	v_add_co_u32_e32 v10, vcc, v10, v55
	v_sub_u32_e32 v0, v0, v29
	v_addc_co_u32_e32 v1, vcc, v1, v26, vcc
	v_cmp_gt_i32_e32 vcc, 1, v0
	s_or_b64 s[38:39], vcc, s[38:39]
	s_waitcnt vmcnt(0) lgkmcnt(0)
	flat_store_byte v[12:13], v4 glc slc
	s_andn2_b64 exec, exec, s[38:39]
	s_cbranch_execnz .LBB12_360
.LBB12_361:                             ;   in Loop: Header=BB12_79 Depth=1
	s_or_b64 exec, exec, s[36:37]
.LBB12_362:                             ;   in Loop: Header=BB12_79 Depth=1
	v_cmp_lt_i32_e64 s[36:37], 0, v15
	s_and_saveexec_b64 s[38:39], s[14:15]
	s_cbranch_execz .LBB12_328
.LBB12_363:                             ;   in Loop: Header=BB12_79 Depth=1
	s_and_saveexec_b64 vcc, s[52:53]
	s_xor_b64 s[40:41], exec, vcc
	s_cbranch_execz .LBB12_397
; %bb.364:                              ;   in Loop: Header=BB12_79 Depth=1
	s_and_saveexec_b64 s[42:43], s[20:21]
	s_cbranch_execz .LBB12_396
; %bb.365:                              ;   in Loop: Header=BB12_79 Depth=1
	s_mov_b64 s[68:69], exec
	v_mbcnt_lo_u32_b32 v0, s68, 0
	v_mbcnt_hi_u32_b32 v0, s69, v0
	v_cmp_eq_u32_e32 vcc, 0, v0
	s_waitcnt vmcnt(0) lgkmcnt(0)
	buffer_wbinvl1_vol
	s_and_saveexec_b64 s[66:67], vcc
	s_cbranch_execz .LBB12_367
; %bb.366:                              ;   in Loop: Header=BB12_79 Depth=1
	s_bcnt1_i32_b64 vcc_lo, s[68:69]
	v_mov_b32_e32 v0, vcc_lo
	v_mov_b32_e32 v1, v16
	ds_add_u64 v0, v[0:1]
	s_trap 2
.LBB12_367:                             ;   in Loop: Header=BB12_79 Depth=1
	s_or_b64 exec, exec, s[66:67]
	s_trap 2
	ds_read_b64 v[0:1], v0
	v_add_co_u32_e32 v32, vcc, v32, v36
	v_addc_co_u32_e32 v33, vcc, 0, v33, vcc
	s_waitcnt lgkmcnt(0)
	v_cmp_lt_u64_e32 vcc, v[0:1], v[32:33]
	s_and_saveexec_b64 s[66:67], vcc
	s_cbranch_execz .LBB12_395
; %bb.368:                              ;   in Loop: Header=BB12_79 Depth=1
	s_mov_b32 s78, 0
	s_mov_b64 s[68:69], 0
                                        ; implicit-def: $sgpr70_sgpr71
                                        ; implicit-def: $sgpr72_sgpr73
	s_branch .LBB12_370
.LBB12_369:                             ;   in Loop: Header=BB12_370 Depth=2
	s_or_b64 exec, exec, s[76:77]
	s_and_b64 vcc, exec, vcc
	s_or_b64 s[68:69], vcc, s[68:69]
	s_andn2_b64 vcc, s[70:71], exec
	s_and_b64 s[70:71], s[72:73], exec
	s_or_b64 s[70:71], vcc, s[70:71]
	s_andn2_b64 exec, exec, s[68:69]
	s_cbranch_execz .LBB12_393
.LBB12_370:                             ;   Parent Loop BB12_79 Depth=1
                                        ; =>  This Inner Loop Header: Depth=2
	s_add_i32 s78, s78, 1
	s_cmpk_lg_i32 s78, 0x2710
	s_cselect_b64 s[74:75], -1, 0
	s_and_b64 vcc, exec, s[74:75]
                                        ; implicit-def: $sgpr76_sgpr77
	s_cbranch_vccnz .LBB12_372
; %bb.371:                              ;   in Loop: Header=BB12_370 Depth=2
	s_trap 2
	ds_read_b64 v[0:1], v0
	s_andn2_b64 s[74:75], s[74:75], exec
	s_mov_b32 s78, 0
	s_mov_b64 s[76:77], -1
	s_waitcnt lgkmcnt(0)
	flat_load_dword v0, v[0:1] glc
	s_waitcnt vmcnt(0) lgkmcnt(0)
	buffer_invl2
	buffer_wbinvl1_vol
	v_cmp_eq_u32_e32 vcc, 0, v0
	s_and_b64 vcc, vcc, exec
	s_or_b64 s[74:75], s[74:75], vcc
.LBB12_372:                             ;   in Loop: Header=BB12_370 Depth=2
	s_andn2_b64 s[72:73], s[72:73], exec
	s_and_b64 s[76:77], s[76:77], exec
	s_mov_b64 vcc, -1
	s_or_b64 s[72:73], s[72:73], s[76:77]
	s_and_saveexec_b64 s[76:77], s[74:75]
	s_cbranch_execz .LBB12_369
; %bb.373:                              ;   in Loop: Header=BB12_370 Depth=2
	s_sleep 1
	s_trap 2
	ds_read_b64 v[0:1], v0
	s_andn2_b64 s[72:73], s[72:73], exec
	s_waitcnt lgkmcnt(0)
	v_cmp_ge_u64_e32 vcc, v[0:1], v[32:33]
	s_orn2_b64 vcc, vcc, exec
	s_branch .LBB12_369
.LBB12_374:                             ;   in Loop: Header=BB12_79 Depth=1
	s_or_b64 exec, exec, s[66:67]
	s_and_saveexec_b64 vcc, s[68:69]
	s_xor_b64 vcc, exec, vcc
	s_cbranch_execz .LBB12_376
; %bb.375:                              ;   in Loop: Header=BB12_79 Depth=1
	ds_write_b32 v0, v47
	s_trap 2
.LBB12_376:                             ;   in Loop: Header=BB12_79 Depth=1
	s_or_b64 exec, exec, s[64:65]
	;;#ASMSTART
	s_wakeup
	;;#ASMEND
.LBB12_377:                             ;   in Loop: Header=BB12_79 Depth=1
	s_or_b64 exec, exec, s[42:43]
.LBB12_378:                             ;   in Loop: Header=BB12_79 Depth=1
	s_andn2_saveexec_b64 vcc, s[40:41]
	s_cbranch_execz .LBB12_380
; %bb.379:                              ;   in Loop: Header=BB12_79 Depth=1
	s_waitcnt vmcnt(0) lgkmcnt(0)
	buffer_wbinvl1_vol
	s_barrier
.LBB12_380:                             ;   in Loop: Header=BB12_79 Depth=1
	s_or_b64 exec, exec, vcc
	s_or_b64 exec, exec, s[38:39]
                                        ; implicit-def: $vgpr0
	s_and_saveexec_b64 vcc, s[28:29]
	s_xor_b64 s[38:39], exec, vcc
	s_cbranch_execnz .LBB12_242
.LBB12_381:                             ;   in Loop: Header=BB12_79 Depth=1
	s_andn2_saveexec_b64 s[36:37], s[38:39]
	s_cbranch_execz .LBB12_419
.LBB12_382:                             ;   in Loop: Header=BB12_79 Depth=1
	s_and_saveexec_b64 vcc, s[52:53]
	s_xor_b64 s[38:39], exec, vcc
	s_cbranch_execz .LBB12_416
; %bb.383:                              ;   in Loop: Header=BB12_79 Depth=1
	s_and_saveexec_b64 s[40:41], s[20:21]
	s_cbranch_execz .LBB12_415
; %bb.384:                              ;   in Loop: Header=BB12_79 Depth=1
	s_mov_b64 s[64:65], exec
	v_mbcnt_lo_u32_b32 v0, s64, 0
	v_mbcnt_hi_u32_b32 v0, s65, v0
	v_cmp_eq_u32_e32 vcc, 0, v0
	;;#ASMSTART
	s_waitcnt lgkmcnt(0) vmcnt(0)
	;;#ASMEND
	s_and_saveexec_b64 s[42:43], vcc
	s_cbranch_execz .LBB12_386
; %bb.385:                              ;   in Loop: Header=BB12_79 Depth=1
	s_bcnt1_i32_b64 vcc_lo, s[64:65]
	v_mov_b32_e32 v0, vcc_lo
	v_mov_b32_e32 v1, v16
	ds_add_u64 v0, v[0:1]
	s_trap 2
.LBB12_386:                             ;   in Loop: Header=BB12_79 Depth=1
	s_or_b64 exec, exec, s[42:43]
	s_trap 2
	ds_read_b64 v[0:1], v0
	v_add_co_u32_e32 v32, vcc, v32, v36
	v_addc_co_u32_e32 v33, vcc, 0, v33, vcc
	s_waitcnt lgkmcnt(0)
	v_cmp_lt_u64_e32 vcc, v[0:1], v[32:33]
	s_and_saveexec_b64 s[42:43], vcc
	s_cbranch_execz .LBB12_414
; %bb.387:                              ;   in Loop: Header=BB12_79 Depth=1
	s_mov_b32 s74, 0
	s_mov_b64 s[64:65], 0
                                        ; implicit-def: $sgpr66_sgpr67
                                        ; implicit-def: $sgpr68_sgpr69
	s_branch .LBB12_389
.LBB12_388:                             ;   in Loop: Header=BB12_389 Depth=2
	s_or_b64 exec, exec, s[72:73]
	s_and_b64 vcc, exec, vcc
	s_or_b64 s[64:65], vcc, s[64:65]
	s_andn2_b64 vcc, s[66:67], exec
	s_and_b64 s[66:67], s[68:69], exec
	s_or_b64 s[66:67], vcc, s[66:67]
	s_andn2_b64 exec, exec, s[64:65]
	s_cbranch_execz .LBB12_412
.LBB12_389:                             ;   Parent Loop BB12_79 Depth=1
                                        ; =>  This Inner Loop Header: Depth=2
	s_add_i32 s74, s74, 1
	s_cmpk_lg_i32 s74, 0x2710
	s_cselect_b64 s[70:71], -1, 0
	s_and_b64 vcc, exec, s[70:71]
                                        ; implicit-def: $sgpr72_sgpr73
	s_cbranch_vccnz .LBB12_391
; %bb.390:                              ;   in Loop: Header=BB12_389 Depth=2
	s_trap 2
	ds_read_b64 v[0:1], v0
	s_andn2_b64 s[70:71], s[70:71], exec
	s_mov_b32 s74, 0
	s_mov_b64 s[72:73], -1
	s_waitcnt vmcnt(0) lgkmcnt(0)
	flat_load_dword v0, v[0:1] glc
	s_waitcnt vmcnt(0) lgkmcnt(0)
	buffer_invl2
	buffer_wbinvl1_vol
	v_cmp_eq_u32_e32 vcc, 0, v0
	s_and_b64 vcc, vcc, exec
	s_or_b64 s[70:71], s[70:71], vcc
.LBB12_391:                             ;   in Loop: Header=BB12_389 Depth=2
	s_andn2_b64 s[68:69], s[68:69], exec
	s_and_b64 s[72:73], s[72:73], exec
	s_mov_b64 vcc, -1
	s_or_b64 s[68:69], s[68:69], s[72:73]
	s_and_saveexec_b64 s[72:73], s[70:71]
	s_cbranch_execz .LBB12_388
; %bb.392:                              ;   in Loop: Header=BB12_389 Depth=2
	s_sleep 1
	s_trap 2
	ds_read_b64 v[0:1], v0
	s_andn2_b64 s[68:69], s[68:69], exec
	s_waitcnt lgkmcnt(0)
	v_cmp_ge_u64_e32 vcc, v[0:1], v[32:33]
	s_orn2_b64 vcc, vcc, exec
	s_branch .LBB12_388
.LBB12_393:                             ;   in Loop: Header=BB12_79 Depth=1
	s_or_b64 exec, exec, s[68:69]
	s_and_saveexec_b64 vcc, s[70:71]
	s_xor_b64 vcc, exec, vcc
	s_cbranch_execz .LBB12_395
; %bb.394:                              ;   in Loop: Header=BB12_79 Depth=1
	ds_write_b32 v0, v47
	s_trap 2
.LBB12_395:                             ;   in Loop: Header=BB12_79 Depth=1
	s_or_b64 exec, exec, s[66:67]
	;;#ASMSTART
	s_wakeup
	;;#ASMEND
.LBB12_396:                             ;   in Loop: Header=BB12_79 Depth=1
	s_or_b64 exec, exec, s[42:43]
.LBB12_397:                             ;   in Loop: Header=BB12_79 Depth=1
	s_andn2_saveexec_b64 vcc, s[40:41]
	s_cbranch_execz .LBB12_399
; %bb.398:                              ;   in Loop: Header=BB12_79 Depth=1
	s_waitcnt vmcnt(0) lgkmcnt(0)
	buffer_wbinvl1_vol
	s_barrier
.LBB12_399:                             ;   in Loop: Header=BB12_79 Depth=1
	s_or_b64 exec, exec, vcc
	s_or_b64 exec, exec, s[38:39]
                                        ; implicit-def: $vgpr0
	s_and_saveexec_b64 vcc, s[28:29]
	s_xor_b64 s[38:39], exec, vcc
	s_cbranch_execnz .LBB12_329
.LBB12_400:                             ;   in Loop: Header=BB12_79 Depth=1
	s_andn2_saveexec_b64 s[36:37], s[38:39]
	s_cbranch_execz .LBB12_332
.LBB12_401:                             ;   in Loop: Header=BB12_79 Depth=1
	s_and_saveexec_b64 vcc, s[52:53]
	s_xor_b64 s[38:39], exec, vcc
	s_cbranch_execz .LBB12_471
; %bb.402:                              ;   in Loop: Header=BB12_79 Depth=1
	s_and_saveexec_b64 s[40:41], s[20:21]
	s_cbranch_execz .LBB12_470
; %bb.403:                              ;   in Loop: Header=BB12_79 Depth=1
	s_mov_b64 s[66:67], exec
	v_mbcnt_lo_u32_b32 v0, s66, 0
	v_mbcnt_hi_u32_b32 v0, s67, v0
	v_cmp_eq_u32_e32 vcc, 0, v0
	;;#ASMSTART
	s_waitcnt lgkmcnt(0) vmcnt(0)
	;;#ASMEND
	s_and_saveexec_b64 s[42:43], vcc
	s_cbranch_execz .LBB12_405
; %bb.404:                              ;   in Loop: Header=BB12_79 Depth=1
	s_bcnt1_i32_b64 vcc_lo, s[66:67]
	v_mov_b32_e32 v0, vcc_lo
	v_mov_b32_e32 v1, v16
	ds_add_u64 v0, v[0:1]
	s_trap 2
.LBB12_405:                             ;   in Loop: Header=BB12_79 Depth=1
	s_or_b64 exec, exec, s[42:43]
	s_trap 2
	ds_read_b64 v[0:1], v0
	v_add_co_u32_e32 v32, vcc, v32, v36
	v_addc_co_u32_e32 v33, vcc, 0, v33, vcc
	s_waitcnt lgkmcnt(0)
	v_cmp_lt_u64_e32 vcc, v[0:1], v[32:33]
	s_and_saveexec_b64 s[42:43], vcc
	s_cbranch_execz .LBB12_469
; %bb.406:                              ;   in Loop: Header=BB12_79 Depth=1
	s_mov_b32 s76, 0
	s_mov_b64 s[66:67], 0
                                        ; implicit-def: $sgpr68_sgpr69
                                        ; implicit-def: $sgpr70_sgpr71
	s_branch .LBB12_408
.LBB12_407:                             ;   in Loop: Header=BB12_408 Depth=2
	s_or_b64 exec, exec, s[74:75]
	s_and_b64 vcc, exec, vcc
	s_or_b64 s[66:67], vcc, s[66:67]
	s_andn2_b64 vcc, s[68:69], exec
	s_and_b64 s[68:69], s[70:71], exec
	s_or_b64 s[68:69], vcc, s[68:69]
	s_andn2_b64 exec, exec, s[66:67]
	s_cbranch_execz .LBB12_467
.LBB12_408:                             ;   Parent Loop BB12_79 Depth=1
                                        ; =>  This Inner Loop Header: Depth=2
	s_add_i32 s76, s76, 1
	s_cmpk_lg_i32 s76, 0x2710
	s_cselect_b64 s[72:73], -1, 0
	s_and_b64 vcc, exec, s[72:73]
                                        ; implicit-def: $sgpr74_sgpr75
	s_cbranch_vccnz .LBB12_410
; %bb.409:                              ;   in Loop: Header=BB12_408 Depth=2
	s_trap 2
	ds_read_b64 v[0:1], v0
	s_andn2_b64 s[72:73], s[72:73], exec
	s_mov_b32 s76, 0
	s_mov_b64 s[74:75], -1
	s_waitcnt vmcnt(0) lgkmcnt(0)
	flat_load_dword v0, v[0:1] glc
	s_waitcnt vmcnt(0) lgkmcnt(0)
	buffer_invl2
	buffer_wbinvl1_vol
	v_cmp_eq_u32_e32 vcc, 0, v0
	s_and_b64 vcc, vcc, exec
	s_or_b64 s[72:73], s[72:73], vcc
.LBB12_410:                             ;   in Loop: Header=BB12_408 Depth=2
	s_andn2_b64 s[70:71], s[70:71], exec
	s_and_b64 s[74:75], s[74:75], exec
	s_mov_b64 vcc, -1
	s_or_b64 s[70:71], s[70:71], s[74:75]
	s_and_saveexec_b64 s[74:75], s[72:73]
	s_cbranch_execz .LBB12_407
; %bb.411:                              ;   in Loop: Header=BB12_408 Depth=2
	s_sleep 1
	s_trap 2
	ds_read_b64 v[0:1], v0
	s_andn2_b64 s[70:71], s[70:71], exec
	s_waitcnt lgkmcnt(0)
	v_cmp_ge_u64_e32 vcc, v[0:1], v[32:33]
	s_orn2_b64 vcc, vcc, exec
	s_branch .LBB12_407
.LBB12_412:                             ;   in Loop: Header=BB12_79 Depth=1
	s_or_b64 exec, exec, s[64:65]
	s_and_saveexec_b64 vcc, s[66:67]
	s_xor_b64 vcc, exec, vcc
	s_cbranch_execz .LBB12_414
; %bb.413:                              ;   in Loop: Header=BB12_79 Depth=1
	ds_write_b32 v0, v47
	s_trap 2
.LBB12_414:                             ;   in Loop: Header=BB12_79 Depth=1
	s_or_b64 exec, exec, s[42:43]
	;;#ASMSTART
	s_wakeup
	;;#ASMEND
.LBB12_415:                             ;   in Loop: Header=BB12_79 Depth=1
	s_or_b64 exec, exec, s[40:41]
.LBB12_416:                             ;   in Loop: Header=BB12_79 Depth=1
	s_andn2_saveexec_b64 vcc, s[38:39]
	s_cbranch_execz .LBB12_418
; %bb.417:                              ;   in Loop: Header=BB12_79 Depth=1
	;;#ASMSTART
	s_waitcnt lgkmcnt(0) vmcnt(0)
	;;#ASMEND
	s_barrier
.LBB12_418:                             ;   in Loop: Header=BB12_79 Depth=1
	s_or_b64 exec, exec, vcc
	v_and_b32_e32 v0, 16, v46
.LBB12_419:                             ;   in Loop: Header=BB12_79 Depth=1
	s_or_b64 exec, exec, s[36:37]
	v_cmp_ne_u32_e32 vcc, 0, v0
	s_xor_b64 s[36:37], s[16:17], -1
	s_and_b64 s[36:37], vcc, s[36:37]
	s_and_saveexec_b64 vcc, s[36:37]
	s_cbranch_execz .LBB12_421
; %bb.420:                              ;   in Loop: Header=BB12_79 Depth=1
	flat_store_dword v[44:45], v47
.LBB12_421:                             ;   in Loop: Header=BB12_79 Depth=1
	s_or_b64 exec, exec, vcc
	v_and_b32_e32 v0, 48, v46
	v_cmp_ne_u32_e32 vcc, 0, v0
	s_and_saveexec_b64 s[36:37], vcc
	s_cbranch_execz .LBB12_423
; %bb.422:                              ;   in Loop: Header=BB12_79 Depth=1
	v_add_co_u32_e32 v8, vcc, 1, v8
	v_addc_co_u32_e32 v9, vcc, 0, v9, vcc
	flat_store_dwordx2 v[22:23], v[8:9]
.LBB12_423:                             ;   in Loop: Header=BB12_79 Depth=1
	s_or_b64 exec, exec, s[36:37]
	v_mov_b32_e32 v1, v42
.LBB12_424:                             ;   in Loop: Header=BB12_79 Depth=1
	s_or_b64 exec, exec, s[62:63]
	s_mov_b64 vcc, 0
	s_and_saveexec_b64 s[38:39], s[30:31]
	s_cbranch_execz .LBB12_565
; %bb.425:                              ;   in Loop: Header=BB12_79 Depth=1
	v_and_b32_e32 v0, 12, v46
	v_cmp_ne_u32_e32 vcc, 0, v0
	s_mov_b64 s[40:41], -1
	s_and_saveexec_b64 s[36:37], vcc
	s_cbranch_execz .LBB12_437
; %bb.426:                              ;   in Loop: Header=BB12_79 Depth=1
	v_and_b32_e32 v2, 8, v46
	v_add_co_u32_e32 v4, vcc, v34, v2
	v_addc_co_u32_e32 v5, vcc, 0, v35, vcc
	v_add_co_u32_e32 v12, vcc, 1, v8
	v_addc_co_u32_e32 v13, vcc, 0, v9, vcc
	v_cmp_lt_u64_e32 vcc, v[4:5], v[12:13]
	v_mov_b32_e32 v0, 1
	s_and_saveexec_b64 s[40:41], vcc
	s_cbranch_execz .LBB12_436
; %bb.427:                              ;   in Loop: Header=BB12_79 Depth=1
	s_mov_b64 s[42:43], 0
	v_mov_b32_e32 v0, 0
                                        ; implicit-def: $sgpr62_sgpr63
	s_branch .LBB12_431
.LBB12_428:                             ;   in Loop: Header=BB12_431 Depth=2
	s_or_b64 exec, exec, s[70:71]
	v_mov_b32_e32 v3, 0
	s_orn2_b64 s[68:69], s[68:69], exec
.LBB12_429:                             ;   in Loop: Header=BB12_431 Depth=2
	s_or_b64 exec, exec, s[66:67]
	s_andn2_b64 vcc, s[62:63], exec
	s_and_b64 s[62:63], s[68:69], exec
	s_or_b64 s[62:63], vcc, s[62:63]
	v_mov_b32_e32 v0, v3
.LBB12_430:                             ;   in Loop: Header=BB12_431 Depth=2
	s_or_b64 exec, exec, s[64:65]
	s_waitcnt vmcnt(0) lgkmcnt(0)
	v_add_co_u32_e32 v4, vcc, v34, v2
	v_addc_co_u32_e32 v5, vcc, 0, v35, vcc
	v_cmp_ge_u64_e32 vcc, v[4:5], v[12:13]
	s_xor_b64 s[64:65], s[62:63], -1
	s_or_b64 vcc, s[64:65], vcc
	s_and_b64 vcc, exec, vcc
	s_or_b64 s[42:43], vcc, s[42:43]
	s_andn2_b64 exec, exec, s[42:43]
	s_cbranch_execz .LBB12_435
.LBB12_431:                             ;   Parent Loop BB12_79 Depth=1
                                        ; =>  This Inner Loop Header: Depth=2
	s_sleep 1
	flat_load_dwordx2 v[34:35], v[22:23] glc
	v_and_b32_e32 v3, 64, v46
	v_cmp_eq_u32_e32 vcc, 0, v3
	s_andn2_b64 s[62:63], s[62:63], exec
	s_and_saveexec_b64 s[64:65], vcc
	s_cbranch_execz .LBB12_430
; %bb.432:                              ;   in Loop: Header=BB12_431 Depth=2
	v_add_u32_e32 v3, 1, v0
	v_cmp_lt_i32_e32 vcc, s82, v0
	s_mov_b64 s[68:69], -1
	s_and_saveexec_b64 s[66:67], vcc
	s_cbranch_execz .LBB12_429
; %bb.433:                              ;   in Loop: Header=BB12_431 Depth=2
	s_trap 2
	ds_read_b64 v[4:5], v0
	s_waitcnt vmcnt(0) lgkmcnt(0)
	flat_load_dword v0, v[4:5] glc
	s_waitcnt vmcnt(0) lgkmcnt(0)
	buffer_invl2
	buffer_wbinvl1_vol
	v_cmp_ne_u32_e32 vcc, 0, v0
	s_and_saveexec_b64 s[70:71], vcc
	s_cbranch_execz .LBB12_428
; %bb.434:                              ;   in Loop: Header=BB12_431 Depth=2
	v_or_b32_e32 v46, 64, v46
	s_xor_b64 s[68:69], exec, -1
	ds_write_b32 v0, v0
	s_trap 2
	s_branch .LBB12_428
.LBB12_435:                             ;   in Loop: Header=BB12_79 Depth=1
	s_or_b64 exec, exec, s[42:43]
	v_and_b32_e32 v0, 12, v46
.LBB12_436:                             ;   in Loop: Header=BB12_79 Depth=1
	s_or_b64 exec, exec, s[40:41]
	v_cmp_eq_u32_e32 vcc, 0, v0
	s_orn2_b64 s[40:41], vcc, exec
	;;#ASMSTART
	s_wakeup
	;;#ASMEND
.LBB12_437:                             ;   in Loop: Header=BB12_79 Depth=1
	s_or_b64 exec, exec, s[36:37]
	v_sub_u32_e32 v0, v14, v1
	s_xor_b64 vcc, s[40:41], -1
	v_min_i32_e32 v2, v42, v0
	s_and_saveexec_b64 s[40:41], vcc
	s_cbranch_execz .LBB12_455
; %bb.438:                              ;   in Loop: Header=BB12_79 Depth=1
	v_and_b32_e32 v0, 0x108, v46
	v_cmp_ne_u32_e32 vcc, s83, v0
	v_and_b32_e32 v10, 7, v8
	s_and_saveexec_b64 s[36:37], vcc
	s_xor_b64 vcc, exec, s[36:37]
                                        ; implicit-def: $vgpr12_vgpr13
; %bb.439:                              ;   in Loop: Header=BB12_79 Depth=1
	v_mov_b32_e32 v13, v16
; %bb.440:                              ;   in Loop: Header=BB12_79 Depth=1
	s_andn2_saveexec_b64 vcc, vcc
	s_cbranch_execz .LBB12_442
; %bb.441:                              ;   in Loop: Header=BB12_79 Depth=1
	v_mov_b32_e32 v13, v16
	v_mad_u64_u32 v[0:1], s[36:37], v10, 24, v[6:7]
	v_ashrrev_i32_e32 v3, 31, v2
	flat_store_dwordx2 v[0:1], v[2:3] offset:8
.LBB12_442:                             ;   in Loop: Header=BB12_79 Depth=1
	s_or_b64 exec, exec, vcc
	v_and_b32_e32 v0, 0x100, v46
	v_cmp_ne_u32_e32 vcc, 0, v0
	s_mov_b64 s[36:37], -1
                                        ; implicit-def: $vgpr14_vgpr15
	s_and_saveexec_b64 s[42:43], vcc
	s_cbranch_execz .LBB12_446
; %bb.443:                              ;   in Loop: Header=BB12_79 Depth=1
	v_mad_u64_u32 v[42:43], vcc, v10, 24, v[6:7]
	v_mov_b32_e32 v0, v43
	v_mad_u64_u32 v[0:1], vcc, v13, 24, v[0:1]
	v_mov_b32_e32 v43, v0
	flat_load_dword v0, v[42:43]
                                        ; implicit-def: $vgpr14_vgpr15
	s_waitcnt vmcnt(0) lgkmcnt(0)
	v_cmp_ne_u32_e32 vcc, 1, v0
	v_cmp_eq_u32_e64 s[36:37], 1, v0
	s_and_saveexec_b64 s[62:63], s[36:37]
	s_cbranch_execz .LBB12_445
; %bb.444:                              ;   in Loop: Header=BB12_79 Depth=1
	flat_load_dword v14, v[42:43] offset:4 glc
	s_waitcnt vmcnt(0) lgkmcnt(0)
	v_ashrrev_i32_e32 v15, 31, v14
.LBB12_445:                             ;   in Loop: Header=BB12_79 Depth=1
	s_or_b64 exec, exec, s[62:63]
	s_orn2_b64 s[36:37], vcc, exec
	v_accvgpr_read_b32 v43, a33
.LBB12_446:                             ;   in Loop: Header=BB12_79 Depth=1
	s_or_b64 exec, exec, s[42:43]
	s_and_saveexec_b64 vcc, s[36:37]
; %bb.447:                              ;   in Loop: Header=BB12_79 Depth=1
	v_accvgpr_read_b32 v1, a13
	v_mul_lo_u32 v0, v13, v30
	v_mul_lo_u32 v1, v10, v1
	v_mad_u64_u32 v[14:15], s[36:37], v10, v30, 0
	v_add3_u32 v15, v15, v1, v0
; %bb.448:                              ;   in Loop: Header=BB12_79 Depth=1
	s_or_b64 exec, exec, vcc
	v_add_co_u32_e32 v0, vcc, v56, v14
	v_addc_co_u32_e32 v1, vcc, v57, v15, vcc
	s_trap 2
	ds_write_b64 v0, v[0:1]
	v_and_b32_e32 v0, 0x2000, v46
	v_cmp_ne_u32_e32 vcc, 0, v0
	s_and_saveexec_b64 s[36:37], vcc
	s_cbranch_execz .LBB12_450
; %bb.449:                              ;   in Loop: Header=BB12_79 Depth=1
	ds_read_b64 v[0:1], v0 offset:584
	s_waitcnt lgkmcnt(0)
	v_add_co_u32_e32 v0, vcc, 1, v0
	v_addc_co_u32_e32 v1, vcc, 0, v1, vcc
	ds_write_b64 v0, v[0:1] offset:584
.LBB12_450:                             ;   in Loop: Header=BB12_79 Depth=1
	s_or_b64 exec, exec, s[36:37]
	v_add_co_u32_e32 v8, vcc, 1, v8
	v_addc_co_u32_e32 v9, vcc, 0, v9, vcc
	s_or_b64 exec, exec, s[40:41]
	s_and_saveexec_b64 s[36:37], s[14:15]
	s_cbranch_execnz .LBB12_456
.LBB12_451:                             ;   in Loop: Header=BB12_79 Depth=1
	s_or_b64 exec, exec, s[36:37]
                                        ; implicit-def: $vgpr0
	s_and_saveexec_b64 vcc, s[28:29]
	s_xor_b64 s[36:37], exec, vcc
	s_cbranch_execz .LBB12_524
.LBB12_452:                             ;   in Loop: Header=BB12_79 Depth=1
	s_trap 2
	ds_read_b32 v1, v0
	v_cmp_lt_i32_e32 vcc, 0, v2
	v_and_b32_e32 v2, 16, v46
	v_and_b32_e32 v0, 16, v46
	s_waitcnt lgkmcnt(0)
	v_readfirstlane_b32 s40, v1
	s_cmp_eq_u32 s40, 0
	s_cselect_b64 s[40:41], -1, 0
	s_and_b64 s[40:41], vcc, s[40:41]
	v_cmp_ne_u32_e32 vcc, 0, v2
	s_and_b64 s[40:41], vcc, s[40:41]
	s_and_saveexec_b64 vcc, s[40:41]
	s_cbranch_execz .LBB12_454
; %bb.453:                              ;   in Loop: Header=BB12_79 Depth=1
	v_mov_b32_e32 v0, 1
	s_waitcnt vmcnt(0)
	buffer_wbinvl1_vol
.LBB12_454:                             ;   in Loop: Header=BB12_79 Depth=1
	s_or_b64 exec, exec, vcc
	s_andn2_saveexec_b64 s[36:37], s[36:37]
	s_cbranch_execz .LBB12_562
	s_branch .LBB12_525
.LBB12_455:                             ;   in Loop: Header=BB12_79 Depth=1
	s_or_b64 exec, exec, s[40:41]
	s_and_saveexec_b64 s[36:37], s[14:15]
	s_cbranch_execz .LBB12_451
.LBB12_456:                             ;   in Loop: Header=BB12_79 Depth=1
	s_and_saveexec_b64 vcc, s[52:53]
	s_xor_b64 s[40:41], exec, vcc
	s_cbranch_execz .LBB12_521
; %bb.457:                              ;   in Loop: Header=BB12_79 Depth=1
	s_and_saveexec_b64 s[42:43], s[20:21]
	s_cbranch_execz .LBB12_520
; %bb.458:                              ;   in Loop: Header=BB12_79 Depth=1
	s_mov_b64 s[64:65], exec
	v_mbcnt_lo_u32_b32 v0, s64, 0
	v_mbcnt_hi_u32_b32 v0, s65, v0
	v_cmp_eq_u32_e32 vcc, 0, v0
	s_waitcnt vmcnt(0) lgkmcnt(0)
	buffer_wbinvl1_vol
	s_and_saveexec_b64 s[62:63], vcc
	s_cbranch_execz .LBB12_460
; %bb.459:                              ;   in Loop: Header=BB12_79 Depth=1
	s_bcnt1_i32_b64 vcc_lo, s[64:65]
	v_mov_b32_e32 v0, vcc_lo
	v_mov_b32_e32 v1, v16
	ds_add_u64 v0, v[0:1]
	s_trap 2
.LBB12_460:                             ;   in Loop: Header=BB12_79 Depth=1
	s_or_b64 exec, exec, s[62:63]
	s_trap 2
	ds_read_b64 v[0:1], v0
	v_add_co_u32_e32 v32, vcc, v32, v36
	v_addc_co_u32_e32 v33, vcc, 0, v33, vcc
	s_waitcnt lgkmcnt(0)
	v_cmp_lt_u64_e32 vcc, v[0:1], v[32:33]
	s_and_saveexec_b64 s[62:63], vcc
	s_cbranch_execz .LBB12_519
; %bb.461:                              ;   in Loop: Header=BB12_79 Depth=1
	s_mov_b32 s74, 0
	s_mov_b64 s[64:65], 0
                                        ; implicit-def: $sgpr66_sgpr67
                                        ; implicit-def: $sgpr68_sgpr69
	s_branch .LBB12_463
.LBB12_462:                             ;   in Loop: Header=BB12_463 Depth=2
	s_or_b64 exec, exec, s[72:73]
	s_and_b64 vcc, exec, vcc
	s_or_b64 s[64:65], vcc, s[64:65]
	s_andn2_b64 vcc, s[66:67], exec
	s_and_b64 s[66:67], s[68:69], exec
	s_or_b64 s[66:67], vcc, s[66:67]
	s_andn2_b64 exec, exec, s[64:65]
	s_cbranch_execz .LBB12_517
.LBB12_463:                             ;   Parent Loop BB12_79 Depth=1
                                        ; =>  This Inner Loop Header: Depth=2
	s_add_i32 s74, s74, 1
	s_cmpk_lg_i32 s74, 0x2710
	s_cselect_b64 s[70:71], -1, 0
	s_and_b64 vcc, exec, s[70:71]
                                        ; implicit-def: $sgpr72_sgpr73
	s_cbranch_vccnz .LBB12_465
; %bb.464:                              ;   in Loop: Header=BB12_463 Depth=2
	s_trap 2
	ds_read_b64 v[0:1], v0
	s_andn2_b64 s[70:71], s[70:71], exec
	s_mov_b32 s74, 0
	s_mov_b64 s[72:73], -1
	s_waitcnt lgkmcnt(0)
	flat_load_dword v0, v[0:1] glc
	s_waitcnt vmcnt(0) lgkmcnt(0)
	buffer_invl2
	buffer_wbinvl1_vol
	v_cmp_eq_u32_e32 vcc, 0, v0
	s_and_b64 vcc, vcc, exec
	s_or_b64 s[70:71], s[70:71], vcc
.LBB12_465:                             ;   in Loop: Header=BB12_463 Depth=2
	s_andn2_b64 s[68:69], s[68:69], exec
	s_and_b64 s[72:73], s[72:73], exec
	s_mov_b64 vcc, -1
	s_or_b64 s[68:69], s[68:69], s[72:73]
	s_and_saveexec_b64 s[72:73], s[70:71]
	s_cbranch_execz .LBB12_462
; %bb.466:                              ;   in Loop: Header=BB12_463 Depth=2
	s_sleep 1
	s_trap 2
	ds_read_b64 v[0:1], v0
	s_andn2_b64 s[68:69], s[68:69], exec
	s_waitcnt lgkmcnt(0)
	v_cmp_ge_u64_e32 vcc, v[0:1], v[32:33]
	s_orn2_b64 vcc, vcc, exec
	s_branch .LBB12_462
.LBB12_467:                             ;   in Loop: Header=BB12_79 Depth=1
	s_or_b64 exec, exec, s[66:67]
	s_and_saveexec_b64 vcc, s[68:69]
	s_xor_b64 vcc, exec, vcc
	s_cbranch_execz .LBB12_469
; %bb.468:                              ;   in Loop: Header=BB12_79 Depth=1
	ds_write_b32 v0, v47
	s_trap 2
.LBB12_469:                             ;   in Loop: Header=BB12_79 Depth=1
	s_or_b64 exec, exec, s[42:43]
	;;#ASMSTART
	s_wakeup
	;;#ASMEND
.LBB12_470:                             ;   in Loop: Header=BB12_79 Depth=1
	s_or_b64 exec, exec, s[40:41]
.LBB12_471:                             ;   in Loop: Header=BB12_79 Depth=1
	s_andn2_saveexec_b64 vcc, s[38:39]
	s_cbranch_execz .LBB12_473
; %bb.472:                              ;   in Loop: Header=BB12_79 Depth=1
	;;#ASMSTART
	s_waitcnt lgkmcnt(0) vmcnt(0)
	;;#ASMEND
	s_barrier
.LBB12_473:                             ;   in Loop: Header=BB12_79 Depth=1
	s_or_b64 exec, exec, vcc
	v_and_b32_e32 v0, 16, v46
	s_or_b64 exec, exec, s[36:37]
	v_cmp_ne_u32_e32 vcc, 0, v0
	s_and_saveexec_b64 s[36:37], vcc
	s_cbranch_execz .LBB12_477
.LBB12_474:                             ;   in Loop: Header=BB12_79 Depth=1
	s_and_saveexec_b64 vcc, s[18:19]
	s_cbranch_execz .LBB12_476
; %bb.475:                              ;   in Loop: Header=BB12_79 Depth=1
	flat_store_dword v[44:45], v47
.LBB12_476:                             ;   in Loop: Header=BB12_79 Depth=1
	s_or_b64 exec, exec, vcc
	v_add_co_u32_e32 v8, vcc, 1, v8
	v_addc_co_u32_e32 v9, vcc, 0, v9, vcc
	flat_store_dwordx2 v[22:23], v[8:9]
.LBB12_477:                             ;   in Loop: Header=BB12_79 Depth=1
	s_or_b64 exec, exec, s[36:37]
	v_mov_b32_e32 v1, v42
.LBB12_478:                             ;   in Loop: Header=BB12_79 Depth=1
	s_or_b64 exec, exec, s[64:65]
	s_mov_b64 vcc, 0
	s_mov_b64 s[40:41], s[58:59]
	s_and_saveexec_b64 s[38:39], s[30:31]
	s_cbranch_execz .LBB12_614
; %bb.479:                              ;   in Loop: Header=BB12_79 Depth=1
	v_and_b32_e32 v0, 8, v46
	v_cmp_ne_u32_e32 vcc, 0, v0
	s_mov_b64 s[40:41], -1
	s_and_saveexec_b64 s[36:37], vcc
	s_cbranch_execz .LBB12_491
; %bb.480:                              ;   in Loop: Header=BB12_79 Depth=1
	v_add_co_u32_e32 v4, vcc, 8, v34
	v_addc_co_u32_e32 v5, vcc, 0, v35, vcc
	v_add_co_u32_e32 v2, vcc, 1, v8
	v_addc_co_u32_e32 v3, vcc, 0, v9, vcc
	v_cmp_lt_u64_e32 vcc, v[4:5], v[2:3]
	v_mov_b32_e32 v0, 1
	s_and_saveexec_b64 s[40:41], vcc
	s_cbranch_execz .LBB12_490
; %bb.481:                              ;   in Loop: Header=BB12_79 Depth=1
	s_mov_b64 s[42:43], 0
	v_mov_b32_e32 v0, 0
                                        ; implicit-def: $sgpr64_sgpr65
	s_branch .LBB12_485
.LBB12_482:                             ;   in Loop: Header=BB12_485 Depth=2
	s_or_b64 exec, exec, s[72:73]
	v_mov_b32_e32 v10, 0
	s_orn2_b64 s[70:71], s[70:71], exec
.LBB12_483:                             ;   in Loop: Header=BB12_485 Depth=2
	s_or_b64 exec, exec, s[68:69]
	s_andn2_b64 vcc, s[64:65], exec
	s_and_b64 s[64:65], s[70:71], exec
	s_or_b64 s[64:65], vcc, s[64:65]
	v_mov_b32_e32 v0, v10
.LBB12_484:                             ;   in Loop: Header=BB12_485 Depth=2
	s_or_b64 exec, exec, s[66:67]
	s_waitcnt vmcnt(0) lgkmcnt(0)
	v_add_co_u32_e32 v4, vcc, 8, v34
	v_addc_co_u32_e32 v5, vcc, 0, v35, vcc
	v_cmp_ge_u64_e32 vcc, v[4:5], v[2:3]
	s_xor_b64 s[66:67], s[64:65], -1
	s_or_b64 vcc, s[66:67], vcc
	s_and_b64 vcc, exec, vcc
	s_or_b64 s[42:43], vcc, s[42:43]
	s_andn2_b64 exec, exec, s[42:43]
	s_cbranch_execz .LBB12_489
.LBB12_485:                             ;   Parent Loop BB12_79 Depth=1
                                        ; =>  This Inner Loop Header: Depth=2
	s_sleep 1
	flat_load_dwordx2 v[34:35], v[22:23] glc
	v_and_b32_e32 v4, 64, v46
	v_cmp_eq_u32_e32 vcc, 0, v4
	s_andn2_b64 s[64:65], s[64:65], exec
	s_and_saveexec_b64 s[66:67], vcc
	s_cbranch_execz .LBB12_484
; %bb.486:                              ;   in Loop: Header=BB12_485 Depth=2
	v_add_u32_e32 v10, 1, v0
	v_cmp_lt_i32_e32 vcc, s82, v0
	s_mov_b64 s[70:71], -1
	s_and_saveexec_b64 s[68:69], vcc
	s_cbranch_execz .LBB12_483
; %bb.487:                              ;   in Loop: Header=BB12_485 Depth=2
	s_trap 2
	ds_read_b64 v[4:5], v0
	s_waitcnt vmcnt(0) lgkmcnt(0)
	flat_load_dword v0, v[4:5] glc
	s_waitcnt vmcnt(0) lgkmcnt(0)
	buffer_invl2
	buffer_wbinvl1_vol
	v_cmp_ne_u32_e32 vcc, 0, v0
	s_and_saveexec_b64 s[72:73], vcc
	s_cbranch_execz .LBB12_482
; %bb.488:                              ;   in Loop: Header=BB12_485 Depth=2
	v_or_b32_e32 v46, 64, v46
	s_xor_b64 s[70:71], exec, -1
	ds_write_b32 v0, v0
	s_trap 2
	s_branch .LBB12_482
.LBB12_489:                             ;   in Loop: Header=BB12_79 Depth=1
	s_or_b64 exec, exec, s[42:43]
	v_and_b32_e32 v0, 8, v46
.LBB12_490:                             ;   in Loop: Header=BB12_79 Depth=1
	s_or_b64 exec, exec, s[40:41]
	v_cmp_eq_u32_e32 vcc, 0, v0
	s_orn2_b64 s[40:41], vcc, exec
	;;#ASMSTART
	s_wakeup
	;;#ASMEND
.LBB12_491:                             ;   in Loop: Header=BB12_79 Depth=1
	s_or_b64 exec, exec, s[36:37]
	v_sub_u32_e32 v0, v14, v1
	s_xor_b64 vcc, s[40:41], -1
	v_min_i32_e32 v2, v42, v0
	s_and_saveexec_b64 s[40:41], vcc
	s_cbranch_execz .LBB12_505
; %bb.492:                              ;   in Loop: Header=BB12_79 Depth=1
	v_and_b32_e32 v0, 0x100, v46
	v_cmp_ne_u32_e32 vcc, 0, v0
	v_and_b32_e32 v0, 7, v8
	s_mov_b64 s[36:37], -1
                                        ; implicit-def: $vgpr12_vgpr13
	s_and_saveexec_b64 s[42:43], vcc
	s_cbranch_execz .LBB12_496
; %bb.493:                              ;   in Loop: Header=BB12_79 Depth=1
	v_mad_u64_u32 v[14:15], vcc, v0, 24, v[6:7]
	flat_load_dword v1, v[14:15]
	v_ashrrev_i32_e32 v3, 31, v2
	flat_store_dwordx2 v[14:15], v[2:3] offset:8
                                        ; implicit-def: $vgpr12_vgpr13
	s_waitcnt vmcnt(0) lgkmcnt(0)
	v_cmp_ne_u32_e32 vcc, 1, v1
	v_cmp_eq_u32_e64 s[36:37], 1, v1
	s_and_saveexec_b64 s[64:65], s[36:37]
	s_cbranch_execz .LBB12_495
; %bb.494:                              ;   in Loop: Header=BB12_79 Depth=1
	flat_load_dword v12, v[14:15] offset:4 glc
	s_waitcnt vmcnt(0) lgkmcnt(0)
	v_ashrrev_i32_e32 v13, 31, v12
.LBB12_495:                             ;   in Loop: Header=BB12_79 Depth=1
	s_or_b64 exec, exec, s[64:65]
	s_orn2_b64 s[36:37], vcc, exec
.LBB12_496:                             ;   in Loop: Header=BB12_79 Depth=1
	s_or_b64 exec, exec, s[42:43]
	s_and_saveexec_b64 vcc, s[36:37]
; %bb.497:                              ;   in Loop: Header=BB12_79 Depth=1
	v_mad_i64_i32 v[12:13], s[36:37], v0, v30, 0
; %bb.498:                              ;   in Loop: Header=BB12_79 Depth=1
	s_or_b64 exec, exec, vcc
	v_add_co_u32_e32 v0, vcc, v56, v12
	v_addc_co_u32_e32 v1, vcc, v57, v13, vcc
	ds_write_b64 v0, v[0:1] offset:792
	v_and_b32_e32 v0, 0x2000, v46
	v_cmp_ne_u32_e32 vcc, 0, v0
	s_and_saveexec_b64 s[36:37], vcc
	s_cbranch_execz .LBB12_500
; %bb.499:                              ;   in Loop: Header=BB12_79 Depth=1
	ds_read_b64 v[0:1], v0 offset:584
	s_waitcnt lgkmcnt(0)
	v_add_co_u32_e32 v0, vcc, 1, v0
	v_addc_co_u32_e32 v1, vcc, 0, v1, vcc
	ds_write_b64 v0, v[0:1] offset:584
.LBB12_500:                             ;   in Loop: Header=BB12_79 Depth=1
	s_or_b64 exec, exec, s[36:37]
	v_add_co_u32_e32 v8, vcc, 1, v8
	v_addc_co_u32_e32 v9, vcc, 0, v9, vcc
	s_or_b64 exec, exec, s[40:41]
	s_and_saveexec_b64 s[36:37], s[14:15]
	s_cbranch_execnz .LBB12_506
.LBB12_501:                             ;   in Loop: Header=BB12_79 Depth=1
	s_or_b64 exec, exec, s[36:37]
                                        ; implicit-def: $vgpr0
	s_and_saveexec_b64 vcc, s[28:29]
	s_xor_b64 s[36:37], exec, vcc
	s_cbranch_execz .LBB12_543
.LBB12_502:                             ;   in Loop: Header=BB12_79 Depth=1
	s_trap 2
	ds_read_b32 v1, v0
	v_cmp_lt_i32_e32 vcc, 0, v2
	v_and_b32_e32 v2, 16, v46
	v_and_b32_e32 v0, 16, v46
	s_waitcnt lgkmcnt(0)
	v_readfirstlane_b32 s40, v1
	s_cmp_eq_u32 s40, 0
	s_cselect_b64 s[40:41], -1, 0
	s_and_b64 s[40:41], vcc, s[40:41]
	v_cmp_ne_u32_e32 vcc, 0, v2
	s_and_b64 s[40:41], vcc, s[40:41]
	s_and_saveexec_b64 vcc, s[40:41]
	s_cbranch_execz .LBB12_504
; %bb.503:                              ;   in Loop: Header=BB12_79 Depth=1
	v_mov_b32_e32 v0, 1
	s_waitcnt vmcnt(0)
	buffer_wbinvl1_vol
.LBB12_504:                             ;   in Loop: Header=BB12_79 Depth=1
	s_or_b64 exec, exec, vcc
	s_andn2_saveexec_b64 s[36:37], s[36:37]
	s_cbranch_execz .LBB12_611
	s_branch .LBB12_544
.LBB12_505:                             ;   in Loop: Header=BB12_79 Depth=1
	s_or_b64 exec, exec, s[40:41]
	s_and_saveexec_b64 s[36:37], s[14:15]
	s_cbranch_execz .LBB12_501
.LBB12_506:                             ;   in Loop: Header=BB12_79 Depth=1
	s_and_saveexec_b64 vcc, s[52:53]
	s_xor_b64 s[40:41], exec, vcc
	s_cbranch_execz .LBB12_540
; %bb.507:                              ;   in Loop: Header=BB12_79 Depth=1
	s_and_saveexec_b64 s[42:43], s[20:21]
	s_cbranch_execz .LBB12_539
; %bb.508:                              ;   in Loop: Header=BB12_79 Depth=1
	s_mov_b64 s[66:67], exec
	v_mbcnt_lo_u32_b32 v0, s66, 0
	v_mbcnt_hi_u32_b32 v0, s67, v0
	v_cmp_eq_u32_e32 vcc, 0, v0
	s_waitcnt vmcnt(0) lgkmcnt(0)
	buffer_wbinvl1_vol
	s_and_saveexec_b64 s[64:65], vcc
	s_cbranch_execz .LBB12_510
; %bb.509:                              ;   in Loop: Header=BB12_79 Depth=1
	s_bcnt1_i32_b64 vcc_lo, s[66:67]
	v_mov_b32_e32 v0, vcc_lo
	v_mov_b32_e32 v1, v16
	ds_add_u64 v0, v[0:1]
	s_trap 2
.LBB12_510:                             ;   in Loop: Header=BB12_79 Depth=1
	s_or_b64 exec, exec, s[64:65]
	s_trap 2
	ds_read_b64 v[0:1], v0
	v_add_co_u32_e32 v32, vcc, v32, v36
	v_addc_co_u32_e32 v33, vcc, 0, v33, vcc
	s_waitcnt lgkmcnt(0)
	v_cmp_lt_u64_e32 vcc, v[0:1], v[32:33]
	s_and_saveexec_b64 s[64:65], vcc
	s_cbranch_execz .LBB12_538
; %bb.511:                              ;   in Loop: Header=BB12_79 Depth=1
	s_mov_b32 s76, 0
	s_mov_b64 s[66:67], 0
                                        ; implicit-def: $sgpr68_sgpr69
                                        ; implicit-def: $sgpr70_sgpr71
	s_branch .LBB12_513
.LBB12_512:                             ;   in Loop: Header=BB12_513 Depth=2
	s_or_b64 exec, exec, s[74:75]
	s_and_b64 vcc, exec, vcc
	s_or_b64 s[66:67], vcc, s[66:67]
	s_andn2_b64 vcc, s[68:69], exec
	s_and_b64 s[68:69], s[70:71], exec
	s_or_b64 s[68:69], vcc, s[68:69]
	s_andn2_b64 exec, exec, s[66:67]
	s_cbranch_execz .LBB12_536
.LBB12_513:                             ;   Parent Loop BB12_79 Depth=1
                                        ; =>  This Inner Loop Header: Depth=2
	s_add_i32 s76, s76, 1
	s_cmpk_lg_i32 s76, 0x2710
	s_cselect_b64 s[72:73], -1, 0
	s_and_b64 vcc, exec, s[72:73]
                                        ; implicit-def: $sgpr74_sgpr75
	s_cbranch_vccnz .LBB12_515
; %bb.514:                              ;   in Loop: Header=BB12_513 Depth=2
	s_trap 2
	ds_read_b64 v[0:1], v0
	s_andn2_b64 s[72:73], s[72:73], exec
	s_mov_b32 s76, 0
	s_mov_b64 s[74:75], -1
	s_waitcnt lgkmcnt(0)
	flat_load_dword v0, v[0:1] glc
	s_waitcnt vmcnt(0) lgkmcnt(0)
	buffer_invl2
	buffer_wbinvl1_vol
	v_cmp_eq_u32_e32 vcc, 0, v0
	s_and_b64 vcc, vcc, exec
	s_or_b64 s[72:73], s[72:73], vcc
.LBB12_515:                             ;   in Loop: Header=BB12_513 Depth=2
	s_andn2_b64 s[70:71], s[70:71], exec
	s_and_b64 s[74:75], s[74:75], exec
	s_mov_b64 vcc, -1
	s_or_b64 s[70:71], s[70:71], s[74:75]
	s_and_saveexec_b64 s[74:75], s[72:73]
	s_cbranch_execz .LBB12_512
; %bb.516:                              ;   in Loop: Header=BB12_513 Depth=2
	s_sleep 1
	s_trap 2
	ds_read_b64 v[0:1], v0
	s_andn2_b64 s[70:71], s[70:71], exec
	s_waitcnt lgkmcnt(0)
	v_cmp_ge_u64_e32 vcc, v[0:1], v[32:33]
	s_orn2_b64 vcc, vcc, exec
	s_branch .LBB12_512
.LBB12_517:                             ;   in Loop: Header=BB12_79 Depth=1
	s_or_b64 exec, exec, s[64:65]
	s_and_saveexec_b64 vcc, s[66:67]
	s_xor_b64 vcc, exec, vcc
	s_cbranch_execz .LBB12_519
; %bb.518:                              ;   in Loop: Header=BB12_79 Depth=1
	ds_write_b32 v0, v47
	s_trap 2
.LBB12_519:                             ;   in Loop: Header=BB12_79 Depth=1
	s_or_b64 exec, exec, s[62:63]
	;;#ASMSTART
	s_wakeup
	;;#ASMEND
.LBB12_520:                             ;   in Loop: Header=BB12_79 Depth=1
	s_or_b64 exec, exec, s[42:43]
.LBB12_521:                             ;   in Loop: Header=BB12_79 Depth=1
	s_andn2_saveexec_b64 vcc, s[40:41]
	s_cbranch_execz .LBB12_523
; %bb.522:                              ;   in Loop: Header=BB12_79 Depth=1
	s_waitcnt vmcnt(0) lgkmcnt(0)
	buffer_wbinvl1_vol
	s_barrier
.LBB12_523:                             ;   in Loop: Header=BB12_79 Depth=1
	s_or_b64 exec, exec, vcc
	s_or_b64 exec, exec, s[36:37]
                                        ; implicit-def: $vgpr0
	s_and_saveexec_b64 vcc, s[28:29]
	s_xor_b64 s[36:37], exec, vcc
	s_cbranch_execnz .LBB12_452
.LBB12_524:                             ;   in Loop: Header=BB12_79 Depth=1
	s_andn2_saveexec_b64 s[36:37], s[36:37]
	s_cbranch_execz .LBB12_562
.LBB12_525:                             ;   in Loop: Header=BB12_79 Depth=1
	s_and_saveexec_b64 vcc, s[52:53]
	s_xor_b64 s[40:41], exec, vcc
	s_cbranch_execz .LBB12_559
; %bb.526:                              ;   in Loop: Header=BB12_79 Depth=1
	s_and_saveexec_b64 s[42:43], s[20:21]
	s_cbranch_execz .LBB12_558
; %bb.527:                              ;   in Loop: Header=BB12_79 Depth=1
	s_mov_b64 s[64:65], exec
	v_mbcnt_lo_u32_b32 v0, s64, 0
	v_mbcnt_hi_u32_b32 v0, s65, v0
	v_cmp_eq_u32_e32 vcc, 0, v0
	;;#ASMSTART
	s_waitcnt lgkmcnt(0) vmcnt(0)
	;;#ASMEND
	s_and_saveexec_b64 s[62:63], vcc
	s_cbranch_execz .LBB12_529
; %bb.528:                              ;   in Loop: Header=BB12_79 Depth=1
	s_bcnt1_i32_b64 vcc_lo, s[64:65]
	v_mov_b32_e32 v0, vcc_lo
	v_mov_b32_e32 v1, v16
	ds_add_u64 v0, v[0:1]
	s_trap 2
.LBB12_529:                             ;   in Loop: Header=BB12_79 Depth=1
	s_or_b64 exec, exec, s[62:63]
	s_trap 2
	ds_read_b64 v[0:1], v0
	v_add_co_u32_e32 v32, vcc, v32, v36
	v_addc_co_u32_e32 v33, vcc, 0, v33, vcc
	s_waitcnt lgkmcnt(0)
	v_cmp_lt_u64_e32 vcc, v[0:1], v[32:33]
	s_and_saveexec_b64 s[62:63], vcc
	s_cbranch_execz .LBB12_557
; %bb.530:                              ;   in Loop: Header=BB12_79 Depth=1
	s_mov_b32 s74, 0
	s_mov_b64 s[64:65], 0
                                        ; implicit-def: $sgpr66_sgpr67
                                        ; implicit-def: $sgpr68_sgpr69
	s_branch .LBB12_532
.LBB12_531:                             ;   in Loop: Header=BB12_532 Depth=2
	s_or_b64 exec, exec, s[72:73]
	s_and_b64 vcc, exec, vcc
	s_or_b64 s[64:65], vcc, s[64:65]
	s_andn2_b64 vcc, s[66:67], exec
	s_and_b64 s[66:67], s[68:69], exec
	s_or_b64 s[66:67], vcc, s[66:67]
	s_andn2_b64 exec, exec, s[64:65]
	s_cbranch_execz .LBB12_555
.LBB12_532:                             ;   Parent Loop BB12_79 Depth=1
                                        ; =>  This Inner Loop Header: Depth=2
	s_add_i32 s74, s74, 1
	s_cmpk_lg_i32 s74, 0x2710
	s_cselect_b64 s[70:71], -1, 0
	s_and_b64 vcc, exec, s[70:71]
                                        ; implicit-def: $sgpr72_sgpr73
	s_cbranch_vccnz .LBB12_534
; %bb.533:                              ;   in Loop: Header=BB12_532 Depth=2
	s_trap 2
	ds_read_b64 v[0:1], v0
	s_andn2_b64 s[70:71], s[70:71], exec
	s_mov_b32 s74, 0
	s_mov_b64 s[72:73], -1
	s_waitcnt vmcnt(0) lgkmcnt(0)
	flat_load_dword v0, v[0:1] glc
	s_waitcnt vmcnt(0) lgkmcnt(0)
	buffer_invl2
	buffer_wbinvl1_vol
	v_cmp_eq_u32_e32 vcc, 0, v0
	s_and_b64 vcc, vcc, exec
	s_or_b64 s[70:71], s[70:71], vcc
.LBB12_534:                             ;   in Loop: Header=BB12_532 Depth=2
	s_andn2_b64 s[68:69], s[68:69], exec
	s_and_b64 s[72:73], s[72:73], exec
	s_mov_b64 vcc, -1
	s_or_b64 s[68:69], s[68:69], s[72:73]
	s_and_saveexec_b64 s[72:73], s[70:71]
	s_cbranch_execz .LBB12_531
; %bb.535:                              ;   in Loop: Header=BB12_532 Depth=2
	s_sleep 1
	s_trap 2
	ds_read_b64 v[0:1], v0
	s_andn2_b64 s[68:69], s[68:69], exec
	s_waitcnt lgkmcnt(0)
	v_cmp_ge_u64_e32 vcc, v[0:1], v[32:33]
	s_orn2_b64 vcc, vcc, exec
	s_branch .LBB12_531
.LBB12_536:                             ;   in Loop: Header=BB12_79 Depth=1
	s_or_b64 exec, exec, s[66:67]
	s_and_saveexec_b64 vcc, s[68:69]
	s_xor_b64 vcc, exec, vcc
	s_cbranch_execz .LBB12_538
; %bb.537:                              ;   in Loop: Header=BB12_79 Depth=1
	ds_write_b32 v0, v47
	s_trap 2
.LBB12_538:                             ;   in Loop: Header=BB12_79 Depth=1
	s_or_b64 exec, exec, s[64:65]
	;;#ASMSTART
	s_wakeup
	;;#ASMEND
.LBB12_539:                             ;   in Loop: Header=BB12_79 Depth=1
	s_or_b64 exec, exec, s[42:43]
.LBB12_540:                             ;   in Loop: Header=BB12_79 Depth=1
	s_andn2_saveexec_b64 vcc, s[40:41]
	s_cbranch_execz .LBB12_542
; %bb.541:                              ;   in Loop: Header=BB12_79 Depth=1
	s_waitcnt vmcnt(0) lgkmcnt(0)
	buffer_wbinvl1_vol
	s_barrier
.LBB12_542:                             ;   in Loop: Header=BB12_79 Depth=1
	s_or_b64 exec, exec, vcc
	s_or_b64 exec, exec, s[36:37]
                                        ; implicit-def: $vgpr0
	s_and_saveexec_b64 vcc, s[28:29]
	s_xor_b64 s[36:37], exec, vcc
	s_cbranch_execnz .LBB12_502
.LBB12_543:                             ;   in Loop: Header=BB12_79 Depth=1
	s_andn2_saveexec_b64 s[36:37], s[36:37]
	s_cbranch_execz .LBB12_611
.LBB12_544:                             ;   in Loop: Header=BB12_79 Depth=1
	s_and_saveexec_b64 vcc, s[52:53]
	s_xor_b64 s[40:41], exec, vcc
	s_cbranch_execz .LBB12_608
; %bb.545:                              ;   in Loop: Header=BB12_79 Depth=1
	s_and_saveexec_b64 s[42:43], s[20:21]
	s_cbranch_execz .LBB12_607
; %bb.546:                              ;   in Loop: Header=BB12_79 Depth=1
	s_mov_b64 s[66:67], exec
	v_mbcnt_lo_u32_b32 v0, s66, 0
	v_mbcnt_hi_u32_b32 v0, s67, v0
	v_cmp_eq_u32_e32 vcc, 0, v0
	;;#ASMSTART
	s_waitcnt lgkmcnt(0) vmcnt(0)
	;;#ASMEND
	s_and_saveexec_b64 s[64:65], vcc
	s_cbranch_execz .LBB12_548
; %bb.547:                              ;   in Loop: Header=BB12_79 Depth=1
	s_bcnt1_i32_b64 vcc_lo, s[66:67]
	v_mov_b32_e32 v0, vcc_lo
	v_mov_b32_e32 v1, v16
	ds_add_u64 v0, v[0:1]
	s_trap 2
.LBB12_548:                             ;   in Loop: Header=BB12_79 Depth=1
	s_or_b64 exec, exec, s[64:65]
	s_trap 2
	ds_read_b64 v[0:1], v0
	v_add_co_u32_e32 v32, vcc, v32, v36
	v_addc_co_u32_e32 v33, vcc, 0, v33, vcc
	s_waitcnt lgkmcnt(0)
	v_cmp_lt_u64_e32 vcc, v[0:1], v[32:33]
	s_and_saveexec_b64 s[64:65], vcc
	s_cbranch_execz .LBB12_606
; %bb.549:                              ;   in Loop: Header=BB12_79 Depth=1
	s_mov_b32 s76, 0
	s_mov_b64 s[66:67], 0
                                        ; implicit-def: $sgpr68_sgpr69
                                        ; implicit-def: $sgpr70_sgpr71
	s_branch .LBB12_551
.LBB12_550:                             ;   in Loop: Header=BB12_551 Depth=2
	s_or_b64 exec, exec, s[74:75]
	s_and_b64 vcc, exec, vcc
	s_or_b64 s[66:67], vcc, s[66:67]
	s_andn2_b64 vcc, s[68:69], exec
	s_and_b64 s[68:69], s[70:71], exec
	s_or_b64 s[68:69], vcc, s[68:69]
	s_andn2_b64 exec, exec, s[66:67]
	s_cbranch_execz .LBB12_604
.LBB12_551:                             ;   Parent Loop BB12_79 Depth=1
                                        ; =>  This Inner Loop Header: Depth=2
	s_add_i32 s76, s76, 1
	s_cmpk_lg_i32 s76, 0x2710
	s_cselect_b64 s[72:73], -1, 0
	s_and_b64 vcc, exec, s[72:73]
                                        ; implicit-def: $sgpr74_sgpr75
	s_cbranch_vccnz .LBB12_553
; %bb.552:                              ;   in Loop: Header=BB12_551 Depth=2
	s_trap 2
	ds_read_b64 v[0:1], v0
	s_andn2_b64 s[72:73], s[72:73], exec
	s_mov_b32 s76, 0
	s_mov_b64 s[74:75], -1
	s_waitcnt vmcnt(0) lgkmcnt(0)
	flat_load_dword v0, v[0:1] glc
	s_waitcnt vmcnt(0) lgkmcnt(0)
	buffer_invl2
	buffer_wbinvl1_vol
	v_cmp_eq_u32_e32 vcc, 0, v0
	s_and_b64 vcc, vcc, exec
	s_or_b64 s[72:73], s[72:73], vcc
.LBB12_553:                             ;   in Loop: Header=BB12_551 Depth=2
	s_andn2_b64 s[70:71], s[70:71], exec
	s_and_b64 s[74:75], s[74:75], exec
	s_mov_b64 vcc, -1
	s_or_b64 s[70:71], s[70:71], s[74:75]
	s_and_saveexec_b64 s[74:75], s[72:73]
	s_cbranch_execz .LBB12_550
; %bb.554:                              ;   in Loop: Header=BB12_551 Depth=2
	s_sleep 1
	s_trap 2
	ds_read_b64 v[0:1], v0
	s_andn2_b64 s[70:71], s[70:71], exec
	s_waitcnt lgkmcnt(0)
	v_cmp_ge_u64_e32 vcc, v[0:1], v[32:33]
	s_orn2_b64 vcc, vcc, exec
	s_branch .LBB12_550
.LBB12_555:                             ;   in Loop: Header=BB12_79 Depth=1
	s_or_b64 exec, exec, s[64:65]
	s_and_saveexec_b64 vcc, s[66:67]
	s_xor_b64 vcc, exec, vcc
	s_cbranch_execz .LBB12_557
; %bb.556:                              ;   in Loop: Header=BB12_79 Depth=1
	ds_write_b32 v0, v47
	s_trap 2
.LBB12_557:                             ;   in Loop: Header=BB12_79 Depth=1
	s_or_b64 exec, exec, s[62:63]
	;;#ASMSTART
	s_wakeup
	;;#ASMEND
.LBB12_558:                             ;   in Loop: Header=BB12_79 Depth=1
	s_or_b64 exec, exec, s[42:43]
.LBB12_559:                             ;   in Loop: Header=BB12_79 Depth=1
	s_andn2_saveexec_b64 vcc, s[40:41]
	s_cbranch_execz .LBB12_561
; %bb.560:                              ;   in Loop: Header=BB12_79 Depth=1
	;;#ASMSTART
	s_waitcnt lgkmcnt(0) vmcnt(0)
	;;#ASMEND
	s_barrier
.LBB12_561:                             ;   in Loop: Header=BB12_79 Depth=1
	s_or_b64 exec, exec, vcc
	v_and_b32_e32 v0, 16, v46
.LBB12_562:                             ;   in Loop: Header=BB12_79 Depth=1
	s_or_b64 exec, exec, s[36:37]
	v_cmp_ne_u32_e32 vcc, 0, v0
	s_xor_b64 s[36:37], s[16:17], -1
	s_and_b64 s[36:37], vcc, s[36:37]
	s_and_saveexec_b64 vcc, s[36:37]
	s_cbranch_execz .LBB12_564
; %bb.563:                              ;   in Loop: Header=BB12_79 Depth=1
	flat_store_dword v[44:45], v47
.LBB12_564:                             ;   in Loop: Header=BB12_79 Depth=1
	s_or_b64 exec, exec, vcc
	v_and_b32_e32 v0, 48, v46
	v_cmp_ne_u32_e32 vcc, 0, v0
	s_and_b64 vcc, vcc, exec
.LBB12_565:                             ;   in Loop: Header=BB12_79 Depth=1
	s_or_b64 exec, exec, s[38:39]
	s_and_b64 s[38:39], vcc, exec
                                        ; implicit-def: $vgpr42
                                        ; implicit-def: $vgpr14
                                        ; implicit-def: $vgpr2
                                        ; implicit-def: $vgpr3
.LBB12_566:                             ;   in Loop: Header=BB12_79 Depth=1
	s_andn2_saveexec_b64 s[40:41], s[58:59]
	s_cbranch_execz .LBB12_994
; %bb.567:                              ;   in Loop: Header=BB12_79 Depth=1
	v_mov_b32_e32 v1, 0
	s_and_saveexec_b64 s[42:43], s[34:35]
	s_cbranch_execz .LBB12_844
; %bb.568:                              ;   in Loop: Header=BB12_79 Depth=1
	s_and_saveexec_b64 s[36:37], s[4:5]
	s_cbranch_execz .LBB12_570
; %bb.569:                              ;   in Loop: Header=BB12_79 Depth=1
	s_trap 2
	ds_read_b128 v[10:13], v0
	s_waitcnt lgkmcnt(0)
	v_add_co_u32_e32 v0, vcc, v10, v2
	v_addc_co_u32_e32 v1, vcc, v11, v3, vcc
	ds_write_b64 v0, v[0:1]
	v_add_co_u32_e32 v0, vcc, v12, v2
	v_addc_co_u32_e32 v1, vcc, v13, v3, vcc
	v_cmp_ne_u64_e32 vcc, 0, v[12:13]
	v_cndmask_b32_e32 v1, 0, v1, vcc
	v_cndmask_b32_e32 v0, 0, v0, vcc
	ds_write_b64 v0, v[0:1]
.LBB12_570:                             ;   in Loop: Header=BB12_79 Depth=1
	s_or_b64 exec, exec, s[36:37]
	v_and_b32_e32 v0, 4, v46
	v_cmp_ne_u32_e32 vcc, 0, v0
	s_mov_b64 s[58:59], -1
	s_and_saveexec_b64 s[36:37], vcc
	s_cbranch_execz .LBB12_580
; %bb.571:                              ;   in Loop: Header=BB12_79 Depth=1
	v_add_co_u32_e32 v2, vcc, 1, v8
	v_addc_co_u32_e32 v3, vcc, 0, v9, vcc
	v_cmp_lt_u64_e32 vcc, v[34:35], v[2:3]
	v_mov_b32_e32 v0, 1
	s_and_saveexec_b64 s[58:59], vcc
	s_cbranch_execz .LBB12_591
; %bb.572:                              ;   in Loop: Header=BB12_79 Depth=1
	s_mov_b64 s[62:63], 0
	v_mov_b32_e32 v0, 0
                                        ; implicit-def: $sgpr64_sgpr65
	s_branch .LBB12_576
.LBB12_573:                             ;   in Loop: Header=BB12_576 Depth=2
	s_or_b64 exec, exec, s[72:73]
	v_mov_b32_e32 v1, 0
	s_orn2_b64 s[70:71], s[70:71], exec
.LBB12_574:                             ;   in Loop: Header=BB12_576 Depth=2
	s_or_b64 exec, exec, s[68:69]
	s_andn2_b64 vcc, s[64:65], exec
	s_and_b64 s[64:65], s[70:71], exec
	s_or_b64 s[64:65], vcc, s[64:65]
	v_mov_b32_e32 v0, v1
.LBB12_575:                             ;   in Loop: Header=BB12_576 Depth=2
	s_or_b64 exec, exec, s[66:67]
	s_waitcnt vmcnt(0) lgkmcnt(0)
	v_cmp_ge_u64_e32 vcc, v[34:35], v[2:3]
	s_xor_b64 s[66:67], s[64:65], -1
	s_or_b64 vcc, s[66:67], vcc
	s_and_b64 vcc, exec, vcc
	s_or_b64 s[62:63], vcc, s[62:63]
	s_andn2_b64 exec, exec, s[62:63]
	s_cbranch_execz .LBB12_590
.LBB12_576:                             ;   Parent Loop BB12_79 Depth=1
                                        ; =>  This Inner Loop Header: Depth=2
	s_sleep 1
	flat_load_dwordx2 v[34:35], v[22:23] glc
	v_and_b32_e32 v1, 64, v46
	v_cmp_eq_u32_e32 vcc, 0, v1
	s_andn2_b64 s[64:65], s[64:65], exec
	s_and_saveexec_b64 s[66:67], vcc
	s_cbranch_execz .LBB12_575
; %bb.577:                              ;   in Loop: Header=BB12_576 Depth=2
	v_add_u32_e32 v1, 1, v0
	v_cmp_lt_i32_e32 vcc, s82, v0
	s_mov_b64 s[70:71], -1
	s_and_saveexec_b64 s[68:69], vcc
	s_cbranch_execz .LBB12_574
; %bb.578:                              ;   in Loop: Header=BB12_576 Depth=2
	s_trap 2
	ds_read_b64 v[0:1], v0
	s_waitcnt vmcnt(0) lgkmcnt(0)
	flat_load_dword v0, v[0:1] glc
	s_waitcnt vmcnt(0) lgkmcnt(0)
	buffer_invl2
	buffer_wbinvl1_vol
	v_cmp_ne_u32_e32 vcc, 0, v0
	s_and_saveexec_b64 s[72:73], vcc
	s_cbranch_execz .LBB12_573
; %bb.579:                              ;   in Loop: Header=BB12_576 Depth=2
	v_or_b32_e32 v46, 64, v46
	s_xor_b64 s[70:71], exec, -1
	ds_write_b32 v0, v0
	s_trap 2
	s_branch .LBB12_573
.LBB12_580:                             ;   in Loop: Header=BB12_79 Depth=1
	s_or_b64 exec, exec, s[36:37]
	s_xor_b64 vcc, s[58:59], -1
	s_and_saveexec_b64 s[58:59], vcc
	s_cbranch_execz .LBB12_592
.LBB12_581:                             ;   in Loop: Header=BB12_79 Depth=1
	v_and_b32_e32 v0, 0x100, v46
	v_cmp_ne_u32_e32 vcc, 0, v0
	v_and_b32_e32 v0, 7, v8
	s_mov_b64 s[36:37], -1
                                        ; implicit-def: $vgpr2_vgpr3
	s_and_saveexec_b64 s[62:63], vcc
	s_cbranch_execz .LBB12_585
; %bb.582:                              ;   in Loop: Header=BB12_79 Depth=1
	v_mad_u64_u32 v[12:13], vcc, v0, 24, v[6:7]
	flat_load_dword v1, v[12:13]
                                        ; implicit-def: $vgpr2_vgpr3
	s_waitcnt vmcnt(0) lgkmcnt(0)
	v_cmp_ne_u32_e32 vcc, 1, v1
	v_cmp_eq_u32_e64 s[36:37], 1, v1
	s_and_saveexec_b64 s[64:65], s[36:37]
	s_cbranch_execz .LBB12_584
; %bb.583:                              ;   in Loop: Header=BB12_79 Depth=1
	flat_load_dword v2, v[12:13] offset:4 glc
	s_waitcnt vmcnt(0) lgkmcnt(0)
	v_ashrrev_i32_e32 v3, 31, v2
.LBB12_584:                             ;   in Loop: Header=BB12_79 Depth=1
	s_or_b64 exec, exec, s[64:65]
	s_orn2_b64 s[36:37], vcc, exec
.LBB12_585:                             ;   in Loop: Header=BB12_79 Depth=1
	s_or_b64 exec, exec, s[62:63]
	s_and_saveexec_b64 vcc, s[36:37]
; %bb.586:                              ;   in Loop: Header=BB12_79 Depth=1
	v_mad_i64_i32 v[2:3], s[36:37], v0, v30, 0
; %bb.587:                              ;   in Loop: Header=BB12_79 Depth=1
	s_or_b64 exec, exec, vcc
	v_add_co_u32_e32 v0, vcc, v56, v2
	v_addc_co_u32_e32 v1, vcc, v57, v3, vcc
	ds_write_b64 v0, v[0:1] offset:720
	v_and_b32_e32 v0, 0x2000, v46
	v_cmp_ne_u32_e32 vcc, 0, v0
	s_and_saveexec_b64 s[36:37], vcc
	s_cbranch_execz .LBB12_589
; %bb.588:                              ;   in Loop: Header=BB12_79 Depth=1
	ds_read_b64 v[0:1], v0 offset:584
	s_waitcnt lgkmcnt(0)
	v_add_co_u32_e32 v0, vcc, 1, v0
	v_addc_co_u32_e32 v1, vcc, 0, v1, vcc
	ds_write_b64 v0, v[0:1] offset:584
.LBB12_589:                             ;   in Loop: Header=BB12_79 Depth=1
	s_or_b64 exec, exec, s[36:37]
	v_add_co_u32_e32 v8, vcc, 1, v8
	v_addc_co_u32_e32 v9, vcc, 0, v9, vcc
	s_or_b64 exec, exec, s[58:59]
	s_and_saveexec_b64 s[36:37], s[14:15]
	s_cbranch_execz .LBB12_660
	s_branch .LBB12_593
.LBB12_590:                             ;   in Loop: Header=BB12_79 Depth=1
	s_or_b64 exec, exec, s[62:63]
	v_and_b32_e32 v0, 4, v46
.LBB12_591:                             ;   in Loop: Header=BB12_79 Depth=1
	s_or_b64 exec, exec, s[58:59]
	v_cmp_eq_u32_e32 vcc, 0, v0
	s_orn2_b64 s[58:59], vcc, exec
	;;#ASMSTART
	s_wakeup
	;;#ASMEND
	s_or_b64 exec, exec, s[36:37]
	s_xor_b64 vcc, s[58:59], -1
	s_and_saveexec_b64 s[58:59], vcc
	s_cbranch_execnz .LBB12_581
.LBB12_592:                             ;   in Loop: Header=BB12_79 Depth=1
	s_or_b64 exec, exec, s[58:59]
	s_and_saveexec_b64 s[36:37], s[14:15]
	s_cbranch_execz .LBB12_660
.LBB12_593:                             ;   in Loop: Header=BB12_79 Depth=1
	s_and_saveexec_b64 vcc, s[52:53]
	s_xor_b64 s[58:59], exec, vcc
	s_cbranch_execz .LBB12_657
; %bb.594:                              ;   in Loop: Header=BB12_79 Depth=1
	s_and_saveexec_b64 s[62:63], s[20:21]
	s_cbranch_execz .LBB12_656
; %bb.595:                              ;   in Loop: Header=BB12_79 Depth=1
	s_mov_b64 s[66:67], exec
	v_mbcnt_lo_u32_b32 v0, s66, 0
	v_mbcnt_hi_u32_b32 v0, s67, v0
	v_cmp_eq_u32_e32 vcc, 0, v0
	s_waitcnt vmcnt(0) lgkmcnt(0)
	buffer_wbinvl1_vol
	s_and_saveexec_b64 s[64:65], vcc
	s_cbranch_execz .LBB12_597
; %bb.596:                              ;   in Loop: Header=BB12_79 Depth=1
	s_bcnt1_i32_b64 vcc_lo, s[66:67]
	v_mov_b32_e32 v0, vcc_lo
	v_mov_b32_e32 v1, v16
	ds_add_u64 v0, v[0:1]
	s_trap 2
.LBB12_597:                             ;   in Loop: Header=BB12_79 Depth=1
	s_or_b64 exec, exec, s[64:65]
	s_trap 2
	ds_read_b64 v[0:1], v0
	v_add_co_u32_e32 v32, vcc, v32, v36
	v_addc_co_u32_e32 v33, vcc, 0, v33, vcc
	s_waitcnt lgkmcnt(0)
	v_cmp_lt_u64_e32 vcc, v[0:1], v[32:33]
	s_and_saveexec_b64 s[64:65], vcc
	s_cbranch_execz .LBB12_655
; %bb.598:                              ;   in Loop: Header=BB12_79 Depth=1
	s_mov_b32 s76, 0
	s_mov_b64 s[66:67], 0
                                        ; implicit-def: $sgpr68_sgpr69
                                        ; implicit-def: $sgpr70_sgpr71
	s_branch .LBB12_600
.LBB12_599:                             ;   in Loop: Header=BB12_600 Depth=2
	s_or_b64 exec, exec, s[74:75]
	s_and_b64 vcc, exec, vcc
	s_or_b64 s[66:67], vcc, s[66:67]
	s_andn2_b64 vcc, s[68:69], exec
	s_and_b64 s[68:69], s[70:71], exec
	s_or_b64 s[68:69], vcc, s[68:69]
	s_andn2_b64 exec, exec, s[66:67]
	s_cbranch_execz .LBB12_653
.LBB12_600:                             ;   Parent Loop BB12_79 Depth=1
                                        ; =>  This Inner Loop Header: Depth=2
	s_add_i32 s76, s76, 1
	s_cmpk_lg_i32 s76, 0x2710
	s_cselect_b64 s[72:73], -1, 0
	s_and_b64 vcc, exec, s[72:73]
                                        ; implicit-def: $sgpr74_sgpr75
	s_cbranch_vccnz .LBB12_602
; %bb.601:                              ;   in Loop: Header=BB12_600 Depth=2
	s_trap 2
	ds_read_b64 v[0:1], v0
	s_andn2_b64 s[72:73], s[72:73], exec
	s_mov_b32 s76, 0
	s_mov_b64 s[74:75], -1
	s_waitcnt lgkmcnt(0)
	flat_load_dword v0, v[0:1] glc
	s_waitcnt vmcnt(0) lgkmcnt(0)
	buffer_invl2
	buffer_wbinvl1_vol
	v_cmp_eq_u32_e32 vcc, 0, v0
	s_and_b64 vcc, vcc, exec
	s_or_b64 s[72:73], s[72:73], vcc
.LBB12_602:                             ;   in Loop: Header=BB12_600 Depth=2
	s_andn2_b64 s[70:71], s[70:71], exec
	s_and_b64 s[74:75], s[74:75], exec
	s_mov_b64 vcc, -1
	s_or_b64 s[70:71], s[70:71], s[74:75]
	s_and_saveexec_b64 s[74:75], s[72:73]
	s_cbranch_execz .LBB12_599
; %bb.603:                              ;   in Loop: Header=BB12_600 Depth=2
	s_sleep 1
	s_trap 2
	ds_read_b64 v[0:1], v0
	s_andn2_b64 s[70:71], s[70:71], exec
	s_waitcnt lgkmcnt(0)
	v_cmp_ge_u64_e32 vcc, v[0:1], v[32:33]
	s_orn2_b64 vcc, vcc, exec
	s_branch .LBB12_599
.LBB12_604:                             ;   in Loop: Header=BB12_79 Depth=1
	s_or_b64 exec, exec, s[66:67]
	s_and_saveexec_b64 vcc, s[68:69]
	s_xor_b64 vcc, exec, vcc
	s_cbranch_execz .LBB12_606
; %bb.605:                              ;   in Loop: Header=BB12_79 Depth=1
	ds_write_b32 v0, v47
	s_trap 2
.LBB12_606:                             ;   in Loop: Header=BB12_79 Depth=1
	s_or_b64 exec, exec, s[64:65]
	;;#ASMSTART
	s_wakeup
	;;#ASMEND
.LBB12_607:                             ;   in Loop: Header=BB12_79 Depth=1
	s_or_b64 exec, exec, s[42:43]
.LBB12_608:                             ;   in Loop: Header=BB12_79 Depth=1
	s_andn2_saveexec_b64 vcc, s[40:41]
	s_cbranch_execz .LBB12_610
; %bb.609:                              ;   in Loop: Header=BB12_79 Depth=1
	;;#ASMSTART
	s_waitcnt lgkmcnt(0) vmcnt(0)
	;;#ASMEND
	s_barrier
.LBB12_610:                             ;   in Loop: Header=BB12_79 Depth=1
	s_or_b64 exec, exec, vcc
	v_and_b32_e32 v0, 16, v46
.LBB12_611:                             ;   in Loop: Header=BB12_79 Depth=1
	s_or_b64 exec, exec, s[36:37]
	v_cmp_ne_u32_e32 vcc, 0, v0
	s_mov_b64 s[36:37], 0
	s_mov_b64 s[40:41], s[58:59]
	s_and_saveexec_b64 s[42:43], vcc
	s_xor_b64 vcc, exec, s[42:43]
; %bb.612:                              ;   in Loop: Header=BB12_79 Depth=1
	s_andn2_b64 s[36:37], s[58:59], exec
	s_and_b64 s[40:41], s[16:17], exec
	s_or_b64 s[40:41], s[36:37], s[40:41]
	s_and_b64 s[36:37], s[18:19], exec
; %bb.613:                              ;   in Loop: Header=BB12_79 Depth=1
	s_or_b64 exec, exec, vcc
	s_andn2_b64 vcc, s[58:59], exec
	s_and_b64 s[40:41], s[40:41], exec
	s_or_b64 s[40:41], vcc, s[40:41]
	s_and_b64 vcc, s[36:37], exec
.LBB12_614:                             ;   in Loop: Header=BB12_79 Depth=1
	s_or_b64 exec, exec, s[38:39]
	s_andn2_b64 s[36:37], s[58:59], exec
	s_and_b64 s[38:39], s[40:41], exec
	s_or_b64 s[36:37], s[36:37], s[38:39]
	s_and_b64 s[38:39], vcc, exec
                                        ; implicit-def: $vgpr42
                                        ; implicit-def: $vgpr14
                                        ; implicit-def: $vgpr2
                                        ; implicit-def: $vgpr3
.LBB12_615:                             ;   in Loop: Header=BB12_79 Depth=1
	s_andn2_saveexec_b64 s[40:41], s[62:63]
	s_cbranch_execz .LBB12_982
; %bb.616:                              ;   in Loop: Header=BB12_79 Depth=1
	v_mov_b32_e32 v1, 0
	s_and_saveexec_b64 s[42:43], s[34:35]
	s_cbranch_execz .LBB12_894
; %bb.617:                              ;   in Loop: Header=BB12_79 Depth=1
	s_and_saveexec_b64 s[34:35], s[4:5]
	s_cbranch_execz .LBB12_619
; %bb.618:                              ;   in Loop: Header=BB12_79 Depth=1
	s_trap 2
	ds_read_b64 v[0:1], v0
	v_mov_b32_e32 v17, v16
	s_waitcnt lgkmcnt(0)
	v_add_co_u32_e32 v0, vcc, v0, v2
	v_addc_co_u32_e32 v1, vcc, v1, v3, vcc
	ds_write_b64 v0, v[16:17]
	v_accvgpr_read_b32 v17, a28
	ds_write_b64 v0, v[0:1]
.LBB12_619:                             ;   in Loop: Header=BB12_79 Depth=1
	s_or_b64 exec, exec, s[34:35]
	v_and_b32_e32 v0, 8, v46
	v_cmp_ne_u32_e32 vcc, 0, v0
	s_mov_b64 s[62:63], -1
	s_and_saveexec_b64 s[34:35], vcc
	s_cbranch_execz .LBB12_631
; %bb.620:                              ;   in Loop: Header=BB12_79 Depth=1
	v_add_co_u32_e32 v0, vcc, 8, v34
	v_addc_co_u32_e32 v1, vcc, 0, v35, vcc
	v_add_co_u32_e32 v2, vcc, 1, v8
	v_addc_co_u32_e32 v3, vcc, 0, v9, vcc
	v_cmp_lt_u64_e32 vcc, v[0:1], v[2:3]
	v_mov_b32_e32 v0, 1
	s_and_saveexec_b64 s[62:63], vcc
	s_cbranch_execz .LBB12_630
; %bb.621:                              ;   in Loop: Header=BB12_79 Depth=1
	s_mov_b64 s[64:65], 0
	v_mov_b32_e32 v0, 0
                                        ; implicit-def: $sgpr66_sgpr67
	s_branch .LBB12_625
.LBB12_622:                             ;   in Loop: Header=BB12_625 Depth=2
	s_or_b64 exec, exec, s[74:75]
	v_mov_b32_e32 v1, 0
	s_orn2_b64 s[72:73], s[72:73], exec
.LBB12_623:                             ;   in Loop: Header=BB12_625 Depth=2
	s_or_b64 exec, exec, s[70:71]
	s_andn2_b64 vcc, s[66:67], exec
	s_and_b64 s[66:67], s[72:73], exec
	s_or_b64 s[66:67], vcc, s[66:67]
	v_mov_b32_e32 v0, v1
.LBB12_624:                             ;   in Loop: Header=BB12_625 Depth=2
	s_or_b64 exec, exec, s[68:69]
	s_waitcnt vmcnt(0) lgkmcnt(0)
	v_add_co_u32_e32 v10, vcc, 8, v34
	v_addc_co_u32_e32 v11, vcc, 0, v35, vcc
	v_cmp_ge_u64_e32 vcc, v[10:11], v[2:3]
	s_xor_b64 s[68:69], s[66:67], -1
	s_or_b64 vcc, s[68:69], vcc
	s_and_b64 vcc, exec, vcc
	s_or_b64 s[64:65], vcc, s[64:65]
	s_andn2_b64 exec, exec, s[64:65]
	s_cbranch_execz .LBB12_629
.LBB12_625:                             ;   Parent Loop BB12_79 Depth=1
                                        ; =>  This Inner Loop Header: Depth=2
	s_sleep 1
	flat_load_dwordx2 v[34:35], v[22:23] glc
	v_and_b32_e32 v1, 64, v46
	v_cmp_eq_u32_e32 vcc, 0, v1
	s_andn2_b64 s[66:67], s[66:67], exec
	s_and_saveexec_b64 s[68:69], vcc
	s_cbranch_execz .LBB12_624
; %bb.626:                              ;   in Loop: Header=BB12_625 Depth=2
	v_add_u32_e32 v1, 1, v0
	v_cmp_lt_i32_e32 vcc, s82, v0
	s_mov_b64 s[72:73], -1
	s_and_saveexec_b64 s[70:71], vcc
	s_cbranch_execz .LBB12_623
; %bb.627:                              ;   in Loop: Header=BB12_625 Depth=2
	s_trap 2
	ds_read_b64 v[0:1], v0
	s_waitcnt vmcnt(0) lgkmcnt(0)
	flat_load_dword v0, v[0:1] glc
	s_waitcnt vmcnt(0) lgkmcnt(0)
	buffer_invl2
	buffer_wbinvl1_vol
	v_cmp_ne_u32_e32 vcc, 0, v0
	s_and_saveexec_b64 s[74:75], vcc
	s_cbranch_execz .LBB12_622
; %bb.628:                              ;   in Loop: Header=BB12_625 Depth=2
	v_or_b32_e32 v46, 64, v46
	s_xor_b64 s[72:73], exec, -1
	ds_write_b32 v0, v0
	s_trap 2
	s_branch .LBB12_622
.LBB12_629:                             ;   in Loop: Header=BB12_79 Depth=1
	s_or_b64 exec, exec, s[64:65]
	v_and_b32_e32 v0, 8, v46
.LBB12_630:                             ;   in Loop: Header=BB12_79 Depth=1
	s_or_b64 exec, exec, s[62:63]
	v_cmp_eq_u32_e32 vcc, 0, v0
	s_orn2_b64 s[62:63], vcc, exec
	;;#ASMSTART
	s_wakeup
	;;#ASMEND
.LBB12_631:                             ;   in Loop: Header=BB12_79 Depth=1
	s_or_b64 exec, exec, s[34:35]
	s_xor_b64 vcc, s[62:63], -1
	v_min_i32_e32 v42, v42, v14
	s_and_saveexec_b64 s[62:63], vcc
	s_cbranch_execz .LBB12_641
; %bb.632:                              ;   in Loop: Header=BB12_79 Depth=1
	v_and_b32_e32 v0, 0x100, v46
	v_cmp_ne_u32_e32 vcc, 0, v0
	v_and_b32_e32 v0, 7, v8
	s_mov_b64 s[34:35], -1
                                        ; implicit-def: $vgpr2_vgpr3
	s_and_saveexec_b64 s[64:65], vcc
	s_cbranch_execz .LBB12_636
; %bb.633:                              ;   in Loop: Header=BB12_79 Depth=1
	v_mad_u64_u32 v[12:13], vcc, v0, 24, v[6:7]
	flat_load_dword v1, v[12:13]
	v_ashrrev_i32_e32 v43, 31, v42
	flat_store_dwordx2 v[12:13], v[42:43] offset:8
                                        ; implicit-def: $vgpr2_vgpr3
	s_waitcnt vmcnt(0) lgkmcnt(0)
	v_cmp_ne_u32_e32 vcc, 1, v1
	v_cmp_eq_u32_e64 s[34:35], 1, v1
	s_and_saveexec_b64 s[66:67], s[34:35]
	s_cbranch_execz .LBB12_635
; %bb.634:                              ;   in Loop: Header=BB12_79 Depth=1
	flat_load_dword v2, v[12:13] offset:4 glc
	s_waitcnt vmcnt(0) lgkmcnt(0)
	v_ashrrev_i32_e32 v3, 31, v2
.LBB12_635:                             ;   in Loop: Header=BB12_79 Depth=1
	s_or_b64 exec, exec, s[66:67]
	s_orn2_b64 s[34:35], vcc, exec
	v_accvgpr_read_b32 v43, a33
.LBB12_636:                             ;   in Loop: Header=BB12_79 Depth=1
	s_or_b64 exec, exec, s[64:65]
	s_and_saveexec_b64 vcc, s[34:35]
; %bb.637:                              ;   in Loop: Header=BB12_79 Depth=1
	v_mad_i64_i32 v[2:3], s[34:35], v0, v30, 0
; %bb.638:                              ;   in Loop: Header=BB12_79 Depth=1
	s_or_b64 exec, exec, vcc
	v_add_co_u32_e32 v0, vcc, v56, v2
	v_addc_co_u32_e32 v1, vcc, v57, v3, vcc
	ds_write_b64 v0, v[0:1] offset:784
	v_and_b32_e32 v0, 0x2000, v46
	v_cmp_ne_u32_e32 vcc, 0, v0
	s_and_saveexec_b64 s[34:35], vcc
	s_cbranch_execz .LBB12_640
; %bb.639:                              ;   in Loop: Header=BB12_79 Depth=1
	ds_read_b64 v[0:1], v0 offset:584
	s_waitcnt lgkmcnt(0)
	v_add_co_u32_e32 v0, vcc, 1, v0
	v_addc_co_u32_e32 v1, vcc, 0, v1, vcc
	ds_write_b64 v0, v[0:1] offset:584
.LBB12_640:                             ;   in Loop: Header=BB12_79 Depth=1
	s_or_b64 exec, exec, s[34:35]
	v_add_co_u32_e32 v8, vcc, 1, v8
	v_addc_co_u32_e32 v9, vcc, 0, v9, vcc
.LBB12_641:                             ;   in Loop: Header=BB12_79 Depth=1
	s_or_b64 exec, exec, s[62:63]
	s_and_saveexec_b64 s[34:35], s[14:15]
	s_cbranch_execz .LBB12_679
; %bb.642:                              ;   in Loop: Header=BB12_79 Depth=1
	s_and_saveexec_b64 vcc, s[52:53]
	s_xor_b64 s[62:63], exec, vcc
	s_cbranch_execz .LBB12_676
; %bb.643:                              ;   in Loop: Header=BB12_79 Depth=1
	s_and_saveexec_b64 s[64:65], s[20:21]
	s_cbranch_execz .LBB12_675
; %bb.644:                              ;   in Loop: Header=BB12_79 Depth=1
	s_mov_b64 s[68:69], exec
	v_mbcnt_lo_u32_b32 v0, s68, 0
	v_mbcnt_hi_u32_b32 v0, s69, v0
	v_cmp_eq_u32_e32 vcc, 0, v0
	s_waitcnt vmcnt(0) lgkmcnt(0)
	buffer_wbinvl1_vol
	s_and_saveexec_b64 s[66:67], vcc
	s_cbranch_execz .LBB12_646
; %bb.645:                              ;   in Loop: Header=BB12_79 Depth=1
	s_bcnt1_i32_b64 vcc_lo, s[68:69]
	v_mov_b32_e32 v0, vcc_lo
	v_mov_b32_e32 v1, v16
	ds_add_u64 v0, v[0:1]
	s_trap 2
.LBB12_646:                             ;   in Loop: Header=BB12_79 Depth=1
	s_or_b64 exec, exec, s[66:67]
	s_trap 2
	ds_read_b64 v[0:1], v0
	v_add_co_u32_e32 v32, vcc, v32, v36
	v_addc_co_u32_e32 v33, vcc, 0, v33, vcc
	s_waitcnt lgkmcnt(0)
	v_cmp_lt_u64_e32 vcc, v[0:1], v[32:33]
	s_and_saveexec_b64 s[66:67], vcc
	s_cbranch_execz .LBB12_674
; %bb.647:                              ;   in Loop: Header=BB12_79 Depth=1
	s_mov_b32 s78, 0
	s_mov_b64 s[68:69], 0
                                        ; implicit-def: $sgpr70_sgpr71
                                        ; implicit-def: $sgpr72_sgpr73
	s_branch .LBB12_649
.LBB12_648:                             ;   in Loop: Header=BB12_649 Depth=2
	s_or_b64 exec, exec, s[76:77]
	s_and_b64 vcc, exec, vcc
	s_or_b64 s[68:69], vcc, s[68:69]
	s_andn2_b64 vcc, s[70:71], exec
	s_and_b64 s[70:71], s[72:73], exec
	s_or_b64 s[70:71], vcc, s[70:71]
	s_andn2_b64 exec, exec, s[68:69]
	s_cbranch_execz .LBB12_672
.LBB12_649:                             ;   Parent Loop BB12_79 Depth=1
                                        ; =>  This Inner Loop Header: Depth=2
	s_add_i32 s78, s78, 1
	s_cmpk_lg_i32 s78, 0x2710
	s_cselect_b64 s[74:75], -1, 0
	s_and_b64 vcc, exec, s[74:75]
                                        ; implicit-def: $sgpr76_sgpr77
	s_cbranch_vccnz .LBB12_651
; %bb.650:                              ;   in Loop: Header=BB12_649 Depth=2
	s_trap 2
	ds_read_b64 v[0:1], v0
	s_andn2_b64 s[74:75], s[74:75], exec
	s_mov_b32 s78, 0
	s_mov_b64 s[76:77], -1
	s_waitcnt lgkmcnt(0)
	flat_load_dword v0, v[0:1] glc
	s_waitcnt vmcnt(0) lgkmcnt(0)
	buffer_invl2
	buffer_wbinvl1_vol
	v_cmp_eq_u32_e32 vcc, 0, v0
	s_and_b64 vcc, vcc, exec
	s_or_b64 s[74:75], s[74:75], vcc
.LBB12_651:                             ;   in Loop: Header=BB12_649 Depth=2
	s_andn2_b64 s[72:73], s[72:73], exec
	s_and_b64 s[76:77], s[76:77], exec
	s_mov_b64 vcc, -1
	s_or_b64 s[72:73], s[72:73], s[76:77]
	s_and_saveexec_b64 s[76:77], s[74:75]
	s_cbranch_execz .LBB12_648
; %bb.652:                              ;   in Loop: Header=BB12_649 Depth=2
	s_sleep 1
	s_trap 2
	ds_read_b64 v[0:1], v0
	s_andn2_b64 s[72:73], s[72:73], exec
	s_waitcnt lgkmcnt(0)
	v_cmp_ge_u64_e32 vcc, v[0:1], v[32:33]
	s_orn2_b64 vcc, vcc, exec
	s_branch .LBB12_648
.LBB12_653:                             ;   in Loop: Header=BB12_79 Depth=1
	s_or_b64 exec, exec, s[66:67]
	s_and_saveexec_b64 vcc, s[68:69]
	s_xor_b64 vcc, exec, vcc
	s_cbranch_execz .LBB12_655
; %bb.654:                              ;   in Loop: Header=BB12_79 Depth=1
	ds_write_b32 v0, v47
	s_trap 2
.LBB12_655:                             ;   in Loop: Header=BB12_79 Depth=1
	s_or_b64 exec, exec, s[64:65]
	;;#ASMSTART
	s_wakeup
	;;#ASMEND
.LBB12_656:                             ;   in Loop: Header=BB12_79 Depth=1
	s_or_b64 exec, exec, s[62:63]
.LBB12_657:                             ;   in Loop: Header=BB12_79 Depth=1
	s_andn2_saveexec_b64 vcc, s[58:59]
	s_cbranch_execz .LBB12_659
; %bb.658:                              ;   in Loop: Header=BB12_79 Depth=1
	s_waitcnt vmcnt(0) lgkmcnt(0)
	buffer_wbinvl1_vol
	s_barrier
.LBB12_659:                             ;   in Loop: Header=BB12_79 Depth=1
	s_or_b64 exec, exec, vcc
.LBB12_660:                             ;   in Loop: Header=BB12_79 Depth=1
	s_or_b64 exec, exec, s[36:37]
	s_trap 2
	ds_read_b32 v1, v0
	v_and_b32_e32 v0, 0x4000, v46
	v_cmp_ne_u32_e32 vcc, 0, v0
	s_xor_b64 s[36:37], s[12:13], -1
	s_and_b64 vcc, s[36:37], vcc
	s_and_saveexec_b64 s[36:37], vcc
	s_cbranch_execz .LBB12_698
; %bb.661:                              ;   in Loop: Header=BB12_79 Depth=1
	s_and_saveexec_b64 vcc, s[52:53]
	s_xor_b64 s[58:59], exec, vcc
	s_cbranch_execz .LBB12_695
; %bb.662:                              ;   in Loop: Header=BB12_79 Depth=1
	s_and_saveexec_b64 s[62:63], s[20:21]
	s_cbranch_execz .LBB12_694
; %bb.663:                              ;   in Loop: Header=BB12_79 Depth=1
	s_mov_b64 s[66:67], exec
	v_mbcnt_lo_u32_b32 v0, s66, 0
	v_mbcnt_hi_u32_b32 v0, s67, v0
	v_cmp_eq_u32_e32 vcc, 0, v0
	s_waitcnt vmcnt(0) lgkmcnt(0)
	buffer_wbinvl1_vol
	s_and_saveexec_b64 s[64:65], vcc
	s_cbranch_execz .LBB12_665
; %bb.664:                              ;   in Loop: Header=BB12_79 Depth=1
	s_bcnt1_i32_b64 vcc_lo, s[66:67]
	v_mov_b32_e32 v2, vcc_lo
	v_mov_b32_e32 v3, v16
	ds_add_u64 v0, v[2:3]
	s_trap 2
.LBB12_665:                             ;   in Loop: Header=BB12_79 Depth=1
	s_or_b64 exec, exec, s[64:65]
	s_trap 2
	ds_read_b64 v[2:3], v0
	v_add_co_u32_e32 v32, vcc, v32, v36
	v_addc_co_u32_e32 v33, vcc, 0, v33, vcc
	s_waitcnt lgkmcnt(0)
	v_cmp_lt_u64_e32 vcc, v[2:3], v[32:33]
	s_and_saveexec_b64 s[64:65], vcc
	s_cbranch_execz .LBB12_693
; %bb.666:                              ;   in Loop: Header=BB12_79 Depth=1
	s_mov_b32 s76, 0
	s_mov_b64 s[66:67], 0
                                        ; implicit-def: $sgpr68_sgpr69
                                        ; implicit-def: $sgpr70_sgpr71
	s_branch .LBB12_668
.LBB12_667:                             ;   in Loop: Header=BB12_668 Depth=2
	s_or_b64 exec, exec, s[74:75]
	s_and_b64 vcc, exec, vcc
	s_or_b64 s[66:67], vcc, s[66:67]
	s_andn2_b64 vcc, s[68:69], exec
	s_and_b64 s[68:69], s[70:71], exec
	s_or_b64 s[68:69], vcc, s[68:69]
	s_andn2_b64 exec, exec, s[66:67]
	s_cbranch_execz .LBB12_691
.LBB12_668:                             ;   Parent Loop BB12_79 Depth=1
                                        ; =>  This Inner Loop Header: Depth=2
	s_add_i32 s76, s76, 1
	s_cmpk_lg_i32 s76, 0x2710
	s_cselect_b64 s[72:73], -1, 0
	s_and_b64 vcc, exec, s[72:73]
                                        ; implicit-def: $sgpr74_sgpr75
	s_cbranch_vccnz .LBB12_670
; %bb.669:                              ;   in Loop: Header=BB12_668 Depth=2
	s_trap 2
	ds_read_b64 v[2:3], v0
	s_andn2_b64 s[72:73], s[72:73], exec
	s_mov_b32 s76, 0
	s_mov_b64 s[74:75], -1
	s_waitcnt lgkmcnt(0)
	flat_load_dword v0, v[2:3] glc
	s_waitcnt vmcnt(0) lgkmcnt(0)
	buffer_invl2
	buffer_wbinvl1_vol
	v_cmp_eq_u32_e32 vcc, 0, v0
	s_and_b64 vcc, vcc, exec
	s_or_b64 s[72:73], s[72:73], vcc
.LBB12_670:                             ;   in Loop: Header=BB12_668 Depth=2
	s_andn2_b64 s[70:71], s[70:71], exec
	s_and_b64 s[74:75], s[74:75], exec
	s_mov_b64 vcc, -1
	s_or_b64 s[70:71], s[70:71], s[74:75]
	s_and_saveexec_b64 s[74:75], s[72:73]
	s_cbranch_execz .LBB12_667
; %bb.671:                              ;   in Loop: Header=BB12_668 Depth=2
	s_sleep 1
	s_trap 2
	ds_read_b64 v[2:3], v0
	s_andn2_b64 s[70:71], s[70:71], exec
	s_waitcnt lgkmcnt(0)
	v_cmp_ge_u64_e32 vcc, v[2:3], v[32:33]
	s_orn2_b64 vcc, vcc, exec
	s_branch .LBB12_667
.LBB12_672:                             ;   in Loop: Header=BB12_79 Depth=1
	s_or_b64 exec, exec, s[68:69]
	s_and_saveexec_b64 vcc, s[70:71]
	s_xor_b64 vcc, exec, vcc
	s_cbranch_execz .LBB12_674
; %bb.673:                              ;   in Loop: Header=BB12_79 Depth=1
	ds_write_b32 v0, v47
	s_trap 2
.LBB12_674:                             ;   in Loop: Header=BB12_79 Depth=1
	s_or_b64 exec, exec, s[66:67]
	;;#ASMSTART
	s_wakeup
	;;#ASMEND
.LBB12_675:                             ;   in Loop: Header=BB12_79 Depth=1
	s_or_b64 exec, exec, s[64:65]
.LBB12_676:                             ;   in Loop: Header=BB12_79 Depth=1
	s_andn2_saveexec_b64 vcc, s[62:63]
	s_cbranch_execz .LBB12_678
; %bb.677:                              ;   in Loop: Header=BB12_79 Depth=1
	s_waitcnt vmcnt(0) lgkmcnt(0)
	buffer_wbinvl1_vol
	s_barrier
.LBB12_678:                             ;   in Loop: Header=BB12_79 Depth=1
	s_or_b64 exec, exec, vcc
.LBB12_679:                             ;   in Loop: Header=BB12_79 Depth=1
	s_or_b64 exec, exec, s[34:35]
	s_trap 2
	ds_read_b32 v1, v0
	v_and_b32_e32 v0, 0x4000, v46
	v_cmp_ne_u32_e32 vcc, 0, v0
	s_xor_b64 s[34:35], s[12:13], -1
	s_and_b64 vcc, s[34:35], vcc
	s_and_saveexec_b64 s[34:35], vcc
	s_cbranch_execz .LBB12_750
; %bb.680:                              ;   in Loop: Header=BB12_79 Depth=1
	s_and_saveexec_b64 vcc, s[52:53]
	s_xor_b64 s[62:63], exec, vcc
	s_cbranch_execz .LBB12_747
; %bb.681:                              ;   in Loop: Header=BB12_79 Depth=1
	s_and_saveexec_b64 s[64:65], s[20:21]
	s_cbranch_execz .LBB12_746
; %bb.682:                              ;   in Loop: Header=BB12_79 Depth=1
	s_mov_b64 s[68:69], exec
	v_mbcnt_lo_u32_b32 v0, s68, 0
	v_mbcnt_hi_u32_b32 v0, s69, v0
	v_cmp_eq_u32_e32 vcc, 0, v0
	s_waitcnt vmcnt(0) lgkmcnt(0)
	buffer_wbinvl1_vol
	s_and_saveexec_b64 s[66:67], vcc
	s_cbranch_execz .LBB12_684
; %bb.683:                              ;   in Loop: Header=BB12_79 Depth=1
	s_bcnt1_i32_b64 vcc_lo, s[68:69]
	v_mov_b32_e32 v2, vcc_lo
	v_mov_b32_e32 v3, v16
	ds_add_u64 v0, v[2:3]
	s_trap 2
.LBB12_684:                             ;   in Loop: Header=BB12_79 Depth=1
	s_or_b64 exec, exec, s[66:67]
	s_trap 2
	ds_read_b64 v[2:3], v0
	v_add_co_u32_e32 v32, vcc, v32, v36
	v_addc_co_u32_e32 v33, vcc, 0, v33, vcc
	s_waitcnt lgkmcnt(0)
	v_cmp_lt_u64_e32 vcc, v[2:3], v[32:33]
	s_and_saveexec_b64 s[66:67], vcc
	s_cbranch_execz .LBB12_745
; %bb.685:                              ;   in Loop: Header=BB12_79 Depth=1
	s_mov_b32 s78, 0
	s_mov_b64 s[68:69], 0
                                        ; implicit-def: $sgpr70_sgpr71
                                        ; implicit-def: $sgpr72_sgpr73
	s_branch .LBB12_687
.LBB12_686:                             ;   in Loop: Header=BB12_687 Depth=2
	s_or_b64 exec, exec, s[76:77]
	s_and_b64 vcc, exec, vcc
	s_or_b64 s[68:69], vcc, s[68:69]
	s_andn2_b64 vcc, s[70:71], exec
	s_and_b64 s[70:71], s[72:73], exec
	s_or_b64 s[70:71], vcc, s[70:71]
	s_andn2_b64 exec, exec, s[68:69]
	s_cbranch_execz .LBB12_743
.LBB12_687:                             ;   Parent Loop BB12_79 Depth=1
                                        ; =>  This Inner Loop Header: Depth=2
	s_add_i32 s78, s78, 1
	s_cmpk_lg_i32 s78, 0x2710
	s_cselect_b64 s[74:75], -1, 0
	s_and_b64 vcc, exec, s[74:75]
                                        ; implicit-def: $sgpr76_sgpr77
	s_cbranch_vccnz .LBB12_689
; %bb.688:                              ;   in Loop: Header=BB12_687 Depth=2
	s_trap 2
	ds_read_b64 v[2:3], v0
	s_andn2_b64 s[74:75], s[74:75], exec
	s_mov_b32 s78, 0
	s_mov_b64 s[76:77], -1
	s_waitcnt lgkmcnt(0)
	flat_load_dword v0, v[2:3] glc
	s_waitcnt vmcnt(0) lgkmcnt(0)
	buffer_invl2
	buffer_wbinvl1_vol
	v_cmp_eq_u32_e32 vcc, 0, v0
	s_and_b64 vcc, vcc, exec
	s_or_b64 s[74:75], s[74:75], vcc
.LBB12_689:                             ;   in Loop: Header=BB12_687 Depth=2
	s_andn2_b64 s[72:73], s[72:73], exec
	s_and_b64 s[76:77], s[76:77], exec
	s_mov_b64 vcc, -1
	s_or_b64 s[72:73], s[72:73], s[76:77]
	s_and_saveexec_b64 s[76:77], s[74:75]
	s_cbranch_execz .LBB12_686
; %bb.690:                              ;   in Loop: Header=BB12_687 Depth=2
	s_sleep 1
	s_trap 2
	ds_read_b64 v[2:3], v0
	s_andn2_b64 s[72:73], s[72:73], exec
	s_waitcnt lgkmcnt(0)
	v_cmp_ge_u64_e32 vcc, v[2:3], v[32:33]
	s_orn2_b64 vcc, vcc, exec
	s_branch .LBB12_686
.LBB12_691:                             ;   in Loop: Header=BB12_79 Depth=1
	s_or_b64 exec, exec, s[66:67]
	s_and_saveexec_b64 vcc, s[68:69]
	s_xor_b64 vcc, exec, vcc
	s_cbranch_execz .LBB12_693
; %bb.692:                              ;   in Loop: Header=BB12_79 Depth=1
	ds_write_b32 v0, v47
	s_trap 2
.LBB12_693:                             ;   in Loop: Header=BB12_79 Depth=1
	s_or_b64 exec, exec, s[64:65]
	;;#ASMSTART
	s_wakeup
	;;#ASMEND
.LBB12_694:                             ;   in Loop: Header=BB12_79 Depth=1
	s_or_b64 exec, exec, s[62:63]
.LBB12_695:                             ;   in Loop: Header=BB12_79 Depth=1
	s_andn2_saveexec_b64 vcc, s[58:59]
	s_cbranch_execz .LBB12_697
; %bb.696:                              ;   in Loop: Header=BB12_79 Depth=1
	s_waitcnt vmcnt(0) lgkmcnt(0)
	buffer_wbinvl1_vol
	s_barrier
.LBB12_697:                             ;   in Loop: Header=BB12_79 Depth=1
	s_or_b64 exec, exec, vcc
.LBB12_698:                             ;   in Loop: Header=BB12_79 Depth=1
	s_or_b64 exec, exec, s[36:37]
	s_trap 2
	ds_read_b64 v[2:3], v0
	v_min_i32_e32 v42, v42, v14
	s_mov_b64 s[36:37], 0
	s_waitcnt lgkmcnt(0)
	v_readfirstlane_b32 vcc_lo, v2
	v_readfirstlane_b32 vcc_hi, v3
	s_cmp_eq_u64 vcc, 0
	s_cselect_b64 vcc, -1, 0
	s_or_b64 vcc, vcc, vcc
	s_and_b64 vcc, exec, vcc
	s_cbranch_vccnz .LBB12_731
; %bb.699:                              ;   in Loop: Header=BB12_79 Depth=1
	s_mov_b64 s[36:37], -1
	s_and_saveexec_b64 s[58:59], s[22:23]
	s_cbranch_execz .LBB12_701
; %bb.700:                              ;   in Loop: Header=BB12_79 Depth=1
	ds_read_b32 v0, v0 offset:720
	s_waitcnt lgkmcnt(0)
	v_and_b32_e32 v0, 15, v0
	v_cmp_eq_u32_e32 vcc, 0, v0
	s_orn2_b64 s[36:37], vcc, exec
.LBB12_701:                             ;   in Loop: Header=BB12_79 Depth=1
	s_or_b64 exec, exec, s[58:59]
	s_and_saveexec_b64 s[58:59], s[26:27]
	s_cbranch_execz .LBB12_703
; %bb.702:                              ;   in Loop: Header=BB12_79 Depth=1
	ds_read_b32 v0, v0 offset:784
	s_waitcnt lgkmcnt(0)
	v_and_b32_e32 v0, 15, v0
	v_cmp_eq_u32_e32 vcc, 0, v0
	s_and_b64 vcc, s[36:37], vcc
	s_andn2_b64 s[36:37], s[36:37], exec
	s_and_b64 vcc, vcc, exec
	s_or_b64 s[36:37], s[36:37], vcc
.LBB12_703:                             ;   in Loop: Header=BB12_79 Depth=1
	s_or_b64 exec, exec, s[58:59]
	v_cmp_eq_u32_e32 vcc, 0, v1
	v_cndmask_b32_e32 v58, 0, v42, vcc
	s_xor_b64 vcc, s[36:37], -1
	v_cndmask_b32_e64 v0, 0, 1, vcc
	v_mov_b32_e32 v37, 0
	s_mov_b64 s[62:63], -1
	;;#ASMSTART
	;;#ASMEND
	v_cmp_ne_u32_e32 vcc, 0, v0
	v_mov_b32_e32 v49, v58
	v_mov_b32_e32 v11, v28
	;; [unrolled: 1-line block ×3, first 2 shown]
	s_cbranch_vccnz .LBB12_717
; %bb.704:                              ;   in Loop: Header=BB12_79 Depth=1
	v_ashrrev_i32_e32 v0, 31, v58
	v_lshrrev_b32_e32 v0, 20, v0
	v_add_u32_e32 v0, v58, v0
	v_ashrrev_i32_e32 v0, 12, v0
	v_sub_u32_e32 v1, v0, v51
	v_cmp_lt_i32_e32 vcc, 0, v1
	s_and_saveexec_b64 s[36:37], vcc
	s_cbranch_execz .LBB12_708
; %bb.705:                              ;   in Loop: Header=BB12_79 Depth=1
	s_trap 2
	ds_read_b64 v[2:3], v0
	s_mov_b64 s[58:59], 0
	s_waitcnt lgkmcnt(0)
	v_pk_mov_b32 v[12:13], v[2:3], v[2:3] op_sel:[0,1]
.LBB12_706:                             ;   Parent Loop BB12_79 Depth=1
                                        ; =>  This Inner Loop Header: Depth=2
	s_waitcnt vmcnt(0)
	v_add_co_u32_e32 v4, vcc, v18, v12
	v_addc_co_u32_e32 v5, vcc, v21, v13, vcc
	global_load_dwordx4 v[18:21], v[4:5], off glc slc
	global_load_dwordx4 v[24:27], v[4:5], off offset:1024 glc slc
	global_load_dwordx4 v[48:51], v[4:5], off offset:2048 glc slc
	;; [unrolled: 1-line block ×3, first 2 shown]
	s_nop 0
	buffer_load_dword v4, off, s[0:3], s33 offset:92 ; 4-byte Folded Reload
	buffer_load_dword v5, off, s[0:3], s33 offset:96 ; 4-byte Folded Reload
	;; [unrolled: 1-line block ×4, first 2 shown]
	v_sub_u32_e32 v1, v1, v36
	s_waitcnt vmcnt(3)
	v_add_co_u32_e32 v4, vcc, v4, v2
	s_waitcnt vmcnt(0)
	v_addc_co_u32_e32 v5, vcc, v11, v3, vcc
	global_store_dwordx4 v[4:5], v[18:21], off glc slc
	buffer_load_dword v20, off, s[0:3], s33 offset:100 ; 4-byte Folded Reload
	s_nop 0
	buffer_load_dword v21, off, s[0:3], s33 offset:104 ; 4-byte Folded Reload
	buffer_load_dword v18, off, s[0:3], s33 offset:92 ; 4-byte Folded Reload
	;; [unrolled: 1-line block ×3, first 2 shown]
	v_add_co_u32_e32 v12, vcc, v12, v17
	v_addc_co_u32_e32 v13, vcc, v13, v61, vcc
	v_add_co_u32_e32 v2, vcc, v2, v17
	v_addc_co_u32_e32 v3, vcc, v3, v61, vcc
	v_cmp_gt_i32_e32 vcc, 1, v1
	s_or_b64 s[58:59], vcc, s[58:59]
	global_store_dwordx4 v[4:5], v[24:27], off offset:1024 glc slc
	global_store_dwordx4 v[4:5], v[48:51], off offset:2048 glc slc
	;; [unrolled: 1-line block ×3, first 2 shown]
	s_andn2_b64 exec, exec, s[58:59]
	s_cbranch_execnz .LBB12_706
; %bb.707:                              ;   in Loop: Header=BB12_79 Depth=1
	s_or_b64 exec, exec, s[58:59]
	v_accvgpr_read_b32 v53, a3
	v_accvgpr_read_b32 v24, a26
	;; [unrolled: 1-line block ×11, first 2 shown]
.LBB12_708:                             ;   in Loop: Header=BB12_79 Depth=1
	s_or_b64 exec, exec, s[36:37]
	v_lshlrev_b32_e32 v0, 12, v0
	v_cmp_ne_u32_e32 vcc, v58, v0
	s_mov_b64 s[62:63], 0
	v_mov_b32_e32 v37, 0
                                        ; implicit-def: $vgpr49
                                        ; implicit-def: $vgpr11
                                        ; implicit-def: $vgpr10
	s_and_saveexec_b64 s[58:59], vcc
	s_cbranch_execz .LBB12_716
; %bb.709:                              ;   in Loop: Header=BB12_79 Depth=1
	v_lshlrev_b32_e32 v1, 6, v1
	v_accvgpr_read_b32 v3, a32
	v_sub_u32_e32 v1, v3, v1
	v_ashrrev_i32_e32 v3, 31, v1
	v_lshrrev_b32_e32 v3, 26, v3
	v_add_u32_e32 v3, v1, v3
	v_sub_u32_e32 v2, v58, v0
	v_ashrrev_i32_e32 v4, 6, v3
	v_and_b32_e32 v3, 0xffffffc0, v3
	v_sub_u32_e32 v12, v1, v3
	v_ashrrev_i32_e32 v3, 31, v2
	v_lshrrev_b32_e32 v3, 22, v3
	v_add_u32_e32 v3, v2, v3
	v_and_b32_e32 v13, 0xfffffc00, v3
	v_lshlrev_b32_e32 v1, 4, v12
	v_sub_u32_e32 v15, v2, v13
	v_lshl_add_u32 v1, v4, 10, v1
	v_ashrrev_i32_e32 v5, 10, v3
	v_cmp_lt_i32_e32 vcc, 15, v15
	v_sub_u32_e32 v11, v2, v1
	v_addc_co_u32_e64 v2, s[36:37], 0, v5, vcc
	v_accvgpr_write_b32 a4, v14
	v_sub_u32_e32 v14, v2, v4
	v_cmp_lt_i32_e64 s[36:37], 15, v11
	s_and_saveexec_b64 s[62:63], s[36:37]
	s_cbranch_execz .LBB12_713
; %bb.710:                              ;   in Loop: Header=BB12_79 Depth=1
	s_trap 2
	ds_read_b64 v[2:3], v0
	v_add_u32_e32 v10, v1, v0
	v_ashrrev_i32_e32 v1, 31, v10
	s_mov_b64 s[64:65], 0
	v_accvgpr_read_b32 v37, a34
.LBB12_711:                             ;   Parent Loop BB12_79 Depth=1
                                        ; =>  This Inner Loop Header: Depth=2
	s_waitcnt lgkmcnt(0)
	v_add_co_u32_e64 v4, s[36:37], v2, v10
	v_addc_co_u32_e64 v5, s[36:37], v3, v1, s[36:37]
	global_load_dwordx4 v[18:21], v[4:5], off glc slc
	v_add_co_u32_e64 v10, s[36:37], v10, v43
	v_sub_u32_e32 v11, v11, v50
	v_addc_co_u32_e64 v1, s[36:37], v1, v37, s[36:37]
	v_cmp_gt_i32_e64 s[36:37], 16, v11
	v_sub_u32_e32 v14, v14, v36
	s_or_b64 s[64:65], s[36:37], s[64:65]
	s_waitcnt vmcnt(0)
	global_store_dwordx4 v[4:5], v[18:21], off glc slc
	s_andn2_b64 exec, exec, s[64:65]
	s_cbranch_execnz .LBB12_711
; %bb.712:                              ;   in Loop: Header=BB12_79 Depth=1
	s_or_b64 exec, exec, s[64:65]
	buffer_load_dword v18, off, s[0:3], s33 offset:92 ; 4-byte Folded Reload
	buffer_load_dword v19, off, s[0:3], s33 offset:96 ; 4-byte Folded Reload
	;; [unrolled: 1-line block ×4, first 2 shown]
.LBB12_713:                             ;   in Loop: Header=BB12_79 Depth=1
	s_or_b64 exec, exec, s[62:63]
	v_and_b32_e32 v1, 15, v58
	v_cndmask_b32_e32 v49, v15, v1, vcc
	v_cmp_ne_u32_e64 s[36:37], 0, v49
	s_mov_b64 s[62:63], 0
	v_mov_b32_e32 v37, 0
                                        ; implicit-def: $vgpr11
                                        ; implicit-def: $vgpr10
	s_and_saveexec_b64 s[64:65], s[36:37]
	s_cbranch_execz .LBB12_715
; %bb.714:                              ;   in Loop: Header=BB12_79 Depth=1
	v_sub_u32_e32 v1, v15, v1
	v_cndmask_b32_e32 v1, 0, v1, vcc
	v_cmp_lt_i32_e32 vcc, 0, v14
	v_add3_u32 v37, v13, v0, v1
	v_cndmask_b32_e32 v0, 0, v36, vcc
	v_sub_u32_e32 v0, v0, v14
	v_lshl_add_u32 v11, v0, 6, v12
	v_ashrrev_i32_e32 v0, 31, v11
	v_lshrrev_b32_e32 v0, 26, v0
	v_add_u32_e32 v0, v11, v0
	s_mov_b64 s[62:63], exec
	v_ashrrev_i32_e32 v10, 6, v0
.LBB12_715:                             ;   in Loop: Header=BB12_79 Depth=1
	s_or_b64 exec, exec, s[64:65]
	s_and_b64 s[62:63], s[62:63], exec
	v_accvgpr_read_b32 v14, a4
.LBB12_716:                             ;   in Loop: Header=BB12_79 Depth=1
	s_or_b64 exec, exec, s[58:59]
.LBB12_717:                             ;   in Loop: Header=BB12_79 Depth=1
	s_and_saveexec_b64 s[36:37], s[62:63]
	s_cbranch_execz .LBB12_726
; %bb.718:                              ;   in Loop: Header=BB12_79 Depth=1
	v_ashrrev_i32_e32 v0, 31, v49
	v_lshrrev_b32_e32 v0, 21, v0
	v_add_u32_e32 v0, v49, v0
	v_ashrrev_i32_e32 v1, 11, v0
	s_waitcnt vmcnt(0)
	v_sub_u32_e32 v19, v1, v10
	v_ashrrev_i32_e32 v0, 31, v11
	v_cmp_lt_i32_e32 vcc, 0, v19
	v_lshrrev_b32_e32 v0, 26, v0
	s_and_saveexec_b64 s[58:59], vcc
	s_cbranch_execz .LBB12_722
; %bb.719:                              ;   in Loop: Header=BB12_79 Depth=1
	s_trap 2
	ds_read_b64 v[2:3], v0
	v_accvgpr_write_b32 a38, v1
	v_add_u32_e32 v1, v11, v0
	v_and_b32_e32 v1, 0xffffffc0, v1
	v_sub_u32_e32 v1, v11, v1
	v_lshlrev_b32_e32 v4, 11, v10
	v_add3_u32 v10, v37, v1, v4
	v_accvgpr_write_b32 a36, v58
	v_accvgpr_write_b32 a35, v14
	;; [unrolled: 1-line block ×5, first 2 shown]
	v_ashrrev_i32_e32 v1, 31, v10
	s_mov_b64 s[62:63], 0
	s_waitcnt lgkmcnt(0)
	v_pk_mov_b32 v[12:13], v[2:3], v[2:3] op_sel:[0,1]
	v_mov_b32_e32 v60, v36
.LBB12_720:                             ;   Parent Loop BB12_79 Depth=1
                                        ; =>  This Inner Loop Header: Depth=2
	v_add_co_u32_e32 v4, vcc, v10, v12
	v_addc_co_u32_e32 v5, vcc, v1, v13, vcc
	flat_load_ubyte v16, v[4:5] glc slc
	flat_load_ubyte v17, v[4:5] offset:64 glc slc
	flat_load_ubyte v20, v[4:5] offset:128 glc slc
	;; [unrolled: 1-line block ×30, first 2 shown]
	s_nop 0
	flat_load_ubyte v4, v[4:5] offset:1984 glc slc
	v_add_co_u32_e32 v14, vcc, v10, v2
	v_addc_co_u32_e32 v15, vcc, v1, v3, vcc
	v_add_co_u32_e32 v12, vcc, v12, v59
	v_addc_co_u32_e32 v13, vcc, v13, v62, vcc
	v_add_co_u32_e32 v2, vcc, v2, v59
	v_sub_u32_e32 v19, v19, v60
	v_addc_co_u32_e32 v3, vcc, v3, v62, vcc
	v_cmp_gt_i32_e32 vcc, 1, v19
	s_or_b64 s[62:63], vcc, s[62:63]
	s_waitcnt vmcnt(0) lgkmcnt(0)
	flat_store_byte v[14:15], v16 glc slc
	flat_store_byte v[14:15], v17 offset:64 glc slc
	flat_store_byte v[14:15], v20 offset:128 glc slc
	;; [unrolled: 1-line block ×31, first 2 shown]
	s_andn2_b64 exec, exec, s[62:63]
	s_cbranch_execnz .LBB12_720
; %bb.721:                              ;   in Loop: Header=BB12_79 Depth=1
	s_or_b64 exec, exec, s[62:63]
	buffer_load_dword v0, off, s[0:3], s33 offset:92 ; 4-byte Folded Reload
	buffer_load_dword v1, off, s[0:3], s33 offset:96 ; 4-byte Folded Reload
	;; [unrolled: 1-line block ×4, first 2 shown]
	v_accvgpr_read_b32 v41, a1
	v_accvgpr_read_b32 v53, a3
	;; [unrolled: 1-line block ×13, first 2 shown]
	v_mov_b32_e32 v36, v60
	v_accvgpr_read_b32 v29, a19
	v_mov_b32_e32 v47, 1
	v_accvgpr_read_b32 v48, a20
	v_accvgpr_read_b32 v50, a21
	;; [unrolled: 1-line block ×12, first 2 shown]
	s_waitcnt vmcnt(0)
	v_accvgpr_read_b32 v1, a38
	v_mov_b32_e32 v18, v0
	v_accvgpr_read_b32 v0, a37
.LBB12_722:                             ;   in Loop: Header=BB12_79 Depth=1
	s_or_b64 exec, exec, s[58:59]
	v_lshlrev_b32_e32 v1, 11, v1
	v_cmp_ne_u32_e32 vcc, v49, v1
	s_and_b64 exec, exec, vcc
	s_cbranch_execz .LBB12_726
; %bb.723:                              ;   in Loop: Header=BB12_79 Depth=1
	v_add_u32_e32 v0, v11, v0
	v_and_b32_e32 v0, 0xffffffc0, v0
	v_sub_u32_e32 v0, v11, v0
	v_lshlrev_b32_e32 v2, 6, v19
	v_sub_u32_e32 v0, v0, v2
	v_add_u32_e32 v1, v1, v0
	v_sub_u32_e32 v0, v49, v1
	v_cmp_lt_i32_e32 vcc, 0, v0
	s_and_b64 exec, exec, vcc
	s_cbranch_execz .LBB12_726
; %bb.724:                              ;   in Loop: Header=BB12_79 Depth=1
	s_trap 2
	ds_read_b64 v[2:3], v0
	v_add_u32_e32 v10, v1, v37
	v_ashrrev_i32_e32 v1, 31, v10
	s_mov_b64 s[58:59], 0
.LBB12_725:                             ;   Parent Loop BB12_79 Depth=1
                                        ; =>  This Inner Loop Header: Depth=2
	s_waitcnt lgkmcnt(0)
	v_add_co_u32_e32 v4, vcc, v2, v10
	v_addc_co_u32_e32 v5, vcc, v3, v1, vcc
	flat_load_ubyte v11, v[4:5] glc slc
	v_add_co_u32_e32 v10, vcc, v10, v55
	v_sub_u32_e32 v0, v0, v29
	v_addc_co_u32_e32 v1, vcc, v1, v26, vcc
	v_cmp_gt_i32_e32 vcc, 1, v0
	s_or_b64 s[58:59], vcc, s[58:59]
	s_waitcnt vmcnt(0) lgkmcnt(0)
	flat_store_byte v[4:5], v11 glc slc
	s_andn2_b64 exec, exec, s[58:59]
	s_cbranch_execnz .LBB12_725
.LBB12_726:                             ;   in Loop: Header=BB12_79 Depth=1
	s_or_b64 exec, exec, s[36:37]
	v_cmp_lt_i32_e64 s[36:37], 0, v58
	s_and_saveexec_b64 s[58:59], s[14:15]
	s_cbranch_execnz .LBB12_732
.LBB12_727:                             ;   in Loop: Header=BB12_79 Depth=1
	s_or_b64 exec, exec, s[58:59]
	s_and_saveexec_b64 vcc, s[28:29]
	s_xor_b64 s[58:59], exec, vcc
	s_cbranch_execz .LBB12_803
.LBB12_728:                             ;   in Loop: Header=BB12_79 Depth=1
	v_and_b32_e32 v0, 16, v46
	v_cmp_ne_u32_e32 vcc, 0, v0
	s_and_b64 s[36:37], vcc, s[36:37]
	s_and_saveexec_b64 vcc, s[36:37]
	s_cbranch_execz .LBB12_730
; %bb.729:                              ;   in Loop: Header=BB12_79 Depth=1
	s_waitcnt vmcnt(0) lgkmcnt(0)
	buffer_wbinvl1_vol
.LBB12_730:                             ;   in Loop: Header=BB12_79 Depth=1
	s_or_b64 exec, exec, vcc
	s_andn2_saveexec_b64 s[36:37], s[58:59]
	s_cbranch_execz .LBB12_841
	s_branch .LBB12_804
.LBB12_731:                             ;   in Loop: Header=BB12_79 Depth=1
	s_and_saveexec_b64 s[58:59], s[14:15]
	s_cbranch_execz .LBB12_727
.LBB12_732:                             ;   in Loop: Header=BB12_79 Depth=1
	s_and_saveexec_b64 vcc, s[52:53]
	s_xor_b64 s[62:63], exec, vcc
	s_cbranch_execz .LBB12_800
; %bb.733:                              ;   in Loop: Header=BB12_79 Depth=1
	s_and_saveexec_b64 s[64:65], s[20:21]
	s_cbranch_execz .LBB12_799
; %bb.734:                              ;   in Loop: Header=BB12_79 Depth=1
	s_mov_b64 s[68:69], exec
	v_mbcnt_lo_u32_b32 v0, s68, 0
	v_mbcnt_hi_u32_b32 v0, s69, v0
	v_cmp_eq_u32_e32 vcc, 0, v0
	s_waitcnt vmcnt(0) lgkmcnt(0)
	buffer_wbinvl1_vol
	s_and_saveexec_b64 s[66:67], vcc
	s_cbranch_execz .LBB12_736
; %bb.735:                              ;   in Loop: Header=BB12_79 Depth=1
	s_bcnt1_i32_b64 vcc_lo, s[68:69]
	v_mov_b32_e32 v0, vcc_lo
	v_mov_b32_e32 v1, v16
	ds_add_u64 v0, v[0:1]
	s_trap 2
.LBB12_736:                             ;   in Loop: Header=BB12_79 Depth=1
	s_or_b64 exec, exec, s[66:67]
	s_trap 2
	ds_read_b64 v[0:1], v0
	v_add_co_u32_e32 v32, vcc, v32, v36
	v_addc_co_u32_e32 v33, vcc, 0, v33, vcc
	s_waitcnt lgkmcnt(0)
	v_cmp_lt_u64_e32 vcc, v[0:1], v[32:33]
	s_and_saveexec_b64 s[66:67], vcc
	s_cbranch_execz .LBB12_798
; %bb.737:                              ;   in Loop: Header=BB12_79 Depth=1
	s_mov_b32 s78, 0
	s_mov_b64 s[68:69], 0
                                        ; implicit-def: $sgpr70_sgpr71
                                        ; implicit-def: $sgpr72_sgpr73
	s_branch .LBB12_739
.LBB12_738:                             ;   in Loop: Header=BB12_739 Depth=2
	s_or_b64 exec, exec, s[76:77]
	s_and_b64 vcc, exec, vcc
	s_or_b64 s[68:69], vcc, s[68:69]
	s_andn2_b64 vcc, s[70:71], exec
	s_and_b64 s[70:71], s[72:73], exec
	s_or_b64 s[70:71], vcc, s[70:71]
	s_andn2_b64 exec, exec, s[68:69]
	s_cbranch_execz .LBB12_796
.LBB12_739:                             ;   Parent Loop BB12_79 Depth=1
                                        ; =>  This Inner Loop Header: Depth=2
	s_add_i32 s78, s78, 1
	s_cmpk_lg_i32 s78, 0x2710
	s_cselect_b64 s[74:75], -1, 0
	s_and_b64 vcc, exec, s[74:75]
                                        ; implicit-def: $sgpr76_sgpr77
	s_cbranch_vccnz .LBB12_741
; %bb.740:                              ;   in Loop: Header=BB12_739 Depth=2
	s_trap 2
	ds_read_b64 v[0:1], v0
	s_andn2_b64 s[74:75], s[74:75], exec
	s_mov_b32 s78, 0
	s_mov_b64 s[76:77], -1
	s_waitcnt lgkmcnt(0)
	flat_load_dword v0, v[0:1] glc
	s_waitcnt vmcnt(0) lgkmcnt(0)
	buffer_invl2
	buffer_wbinvl1_vol
	v_cmp_eq_u32_e32 vcc, 0, v0
	s_and_b64 vcc, vcc, exec
	s_or_b64 s[74:75], s[74:75], vcc
.LBB12_741:                             ;   in Loop: Header=BB12_739 Depth=2
	s_andn2_b64 s[72:73], s[72:73], exec
	s_and_b64 s[76:77], s[76:77], exec
	s_mov_b64 vcc, -1
	s_or_b64 s[72:73], s[72:73], s[76:77]
	s_and_saveexec_b64 s[76:77], s[74:75]
	s_cbranch_execz .LBB12_738
; %bb.742:                              ;   in Loop: Header=BB12_739 Depth=2
	s_sleep 1
	s_trap 2
	ds_read_b64 v[0:1], v0
	s_andn2_b64 s[72:73], s[72:73], exec
	s_waitcnt lgkmcnt(0)
	v_cmp_ge_u64_e32 vcc, v[0:1], v[32:33]
	s_orn2_b64 vcc, vcc, exec
	s_branch .LBB12_738
.LBB12_743:                             ;   in Loop: Header=BB12_79 Depth=1
	s_or_b64 exec, exec, s[68:69]
	s_and_saveexec_b64 vcc, s[70:71]
	s_xor_b64 vcc, exec, vcc
	s_cbranch_execz .LBB12_745
; %bb.744:                              ;   in Loop: Header=BB12_79 Depth=1
	ds_write_b32 v0, v47
	s_trap 2
.LBB12_745:                             ;   in Loop: Header=BB12_79 Depth=1
	s_or_b64 exec, exec, s[66:67]
	;;#ASMSTART
	s_wakeup
	;;#ASMEND
.LBB12_746:                             ;   in Loop: Header=BB12_79 Depth=1
	s_or_b64 exec, exec, s[64:65]
.LBB12_747:                             ;   in Loop: Header=BB12_79 Depth=1
	s_andn2_saveexec_b64 vcc, s[62:63]
	s_cbranch_execz .LBB12_749
; %bb.748:                              ;   in Loop: Header=BB12_79 Depth=1
	s_waitcnt vmcnt(0) lgkmcnt(0)
	buffer_wbinvl1_vol
	s_barrier
.LBB12_749:                             ;   in Loop: Header=BB12_79 Depth=1
	s_or_b64 exec, exec, vcc
.LBB12_750:                             ;   in Loop: Header=BB12_79 Depth=1
	s_or_b64 exec, exec, s[34:35]
	s_trap 2
	ds_read_b64 v[2:3], v0
	s_mov_b64 s[34:35], 0
	s_waitcnt lgkmcnt(0)
	v_readfirstlane_b32 vcc_lo, v2
	v_readfirstlane_b32 vcc_hi, v3
	s_cmp_eq_u64 vcc, 0
	s_cselect_b64 vcc, -1, 0
	s_or_b64 vcc, vcc, vcc
	s_and_b64 vcc, exec, vcc
	s_cbranch_vccnz .LBB12_784
; %bb.751:                              ;   in Loop: Header=BB12_79 Depth=1
	s_mov_b64 s[34:35], -1
	s_and_saveexec_b64 s[62:63], s[26:27]
	s_cbranch_execz .LBB12_753
; %bb.752:                              ;   in Loop: Header=BB12_79 Depth=1
	ds_read_b32 v0, v0 offset:720
	s_waitcnt lgkmcnt(0)
	v_and_b32_e32 v0, 15, v0
	v_cmp_eq_u32_e32 vcc, 0, v0
	s_orn2_b64 s[34:35], vcc, exec
.LBB12_753:                             ;   in Loop: Header=BB12_79 Depth=1
	s_or_b64 exec, exec, s[62:63]
	s_and_saveexec_b64 s[62:63], s[22:23]
	s_cbranch_execz .LBB12_755
; %bb.754:                              ;   in Loop: Header=BB12_79 Depth=1
	ds_read_b32 v0, v0 offset:784
	s_waitcnt lgkmcnt(0)
	v_and_b32_e32 v0, 15, v0
	v_cmp_eq_u32_e32 vcc, 0, v0
	s_and_b64 vcc, s[34:35], vcc
	s_andn2_b64 s[34:35], s[34:35], exec
	s_and_b64 vcc, vcc, exec
	s_or_b64 s[34:35], s[34:35], vcc
.LBB12_755:                             ;   in Loop: Header=BB12_79 Depth=1
	s_or_b64 exec, exec, s[62:63]
	v_cmp_eq_u32_e32 vcc, 0, v1
	v_cndmask_b32_e32 v58, 0, v42, vcc
	s_xor_b64 vcc, s[34:35], -1
	v_cndmask_b32_e64 v0, 0, 1, vcc
	v_mov_b32_e32 v37, 0
	s_mov_b64 s[64:65], -1
	;;#ASMSTART
	;;#ASMEND
	v_cmp_ne_u32_e32 vcc, 0, v0
	v_mov_b32_e32 v49, v58
	v_mov_b32_e32 v11, v28
	;; [unrolled: 1-line block ×3, first 2 shown]
	s_cbranch_vccnz .LBB12_769
; %bb.756:                              ;   in Loop: Header=BB12_79 Depth=1
	v_ashrrev_i32_e32 v0, 31, v58
	v_lshrrev_b32_e32 v0, 20, v0
	v_add_u32_e32 v0, v58, v0
	v_ashrrev_i32_e32 v0, 12, v0
	v_sub_u32_e32 v1, v0, v51
	v_cmp_lt_i32_e32 vcc, 0, v1
	s_and_saveexec_b64 s[34:35], vcc
	s_cbranch_execz .LBB12_760
; %bb.757:                              ;   in Loop: Header=BB12_79 Depth=1
	s_trap 2
	ds_read_b64 v[2:3], v0
	s_mov_b64 s[62:63], 0
	s_waitcnt lgkmcnt(0)
	v_pk_mov_b32 v[12:13], v[2:3], v[2:3] op_sel:[0,1]
.LBB12_758:                             ;   Parent Loop BB12_79 Depth=1
                                        ; =>  This Inner Loop Header: Depth=2
	s_waitcnt vmcnt(0)
	v_add_co_u32_e32 v10, vcc, v18, v12
	v_addc_co_u32_e32 v11, vcc, v21, v13, vcc
	global_load_dwordx4 v[18:21], v[10:11], off glc slc
	global_load_dwordx4 v[24:27], v[10:11], off offset:1024 glc slc
	global_load_dwordx4 v[48:51], v[10:11], off offset:2048 glc slc
	;; [unrolled: 1-line block ×3, first 2 shown]
	buffer_load_dword v4, off, s[0:3], s33 offset:92 ; 4-byte Folded Reload
	buffer_load_dword v5, off, s[0:3], s33 offset:96 ; 4-byte Folded Reload
	v_sub_u32_e32 v1, v1, v36
	s_waitcnt vmcnt(1)
	v_add_co_u32_e32 v10, vcc, v4, v2
	buffer_load_dword v4, off, s[0:3], s33 offset:100 ; 4-byte Folded Reload
	buffer_load_dword v5, off, s[0:3], s33 offset:104 ; 4-byte Folded Reload
	s_waitcnt vmcnt(0)
	v_addc_co_u32_e32 v11, vcc, v5, v3, vcc
	global_store_dwordx4 v[10:11], v[18:21], off glc slc
	buffer_load_dword v20, off, s[0:3], s33 offset:100 ; 4-byte Folded Reload
	s_nop 0
	buffer_load_dword v21, off, s[0:3], s33 offset:104 ; 4-byte Folded Reload
	buffer_load_dword v18, off, s[0:3], s33 offset:92 ; 4-byte Folded Reload
	;; [unrolled: 1-line block ×3, first 2 shown]
	v_add_co_u32_e32 v12, vcc, v12, v17
	v_addc_co_u32_e32 v13, vcc, v13, v61, vcc
	v_add_co_u32_e32 v2, vcc, v2, v17
	v_addc_co_u32_e32 v3, vcc, v3, v61, vcc
	v_cmp_gt_i32_e32 vcc, 1, v1
	s_or_b64 s[62:63], vcc, s[62:63]
	global_store_dwordx4 v[10:11], v[24:27], off offset:1024 glc slc
	global_store_dwordx4 v[10:11], v[48:51], off offset:2048 glc slc
	;; [unrolled: 1-line block ×3, first 2 shown]
	s_andn2_b64 exec, exec, s[62:63]
	s_cbranch_execnz .LBB12_758
; %bb.759:                              ;   in Loop: Header=BB12_79 Depth=1
	s_or_b64 exec, exec, s[62:63]
	v_accvgpr_read_b32 v53, a3
	v_accvgpr_read_b32 v24, a26
	;; [unrolled: 1-line block ×11, first 2 shown]
.LBB12_760:                             ;   in Loop: Header=BB12_79 Depth=1
	s_or_b64 exec, exec, s[34:35]
	v_lshlrev_b32_e32 v0, 12, v0
	v_cmp_ne_u32_e32 vcc, v58, v0
	s_mov_b64 s[64:65], 0
	v_mov_b32_e32 v37, 0
                                        ; implicit-def: $vgpr49
                                        ; implicit-def: $vgpr11
                                        ; implicit-def: $vgpr10
	s_and_saveexec_b64 s[62:63], vcc
	s_cbranch_execz .LBB12_768
; %bb.761:                              ;   in Loop: Header=BB12_79 Depth=1
	v_lshlrev_b32_e32 v1, 6, v1
	v_accvgpr_read_b32 v3, a32
	v_sub_u32_e32 v1, v3, v1
	v_ashrrev_i32_e32 v3, 31, v1
	v_lshrrev_b32_e32 v3, 26, v3
	v_add_u32_e32 v3, v1, v3
	v_sub_u32_e32 v2, v58, v0
	v_ashrrev_i32_e32 v4, 6, v3
	v_and_b32_e32 v3, 0xffffffc0, v3
	v_sub_u32_e32 v12, v1, v3
	v_ashrrev_i32_e32 v3, 31, v2
	v_lshrrev_b32_e32 v3, 22, v3
	v_add_u32_e32 v3, v2, v3
	v_and_b32_e32 v13, 0xfffffc00, v3
	v_lshlrev_b32_e32 v1, 4, v12
	v_sub_u32_e32 v15, v2, v13
	v_lshl_add_u32 v1, v4, 10, v1
	v_ashrrev_i32_e32 v5, 10, v3
	v_cmp_lt_i32_e32 vcc, 15, v15
	v_sub_u32_e32 v11, v2, v1
	v_addc_co_u32_e64 v2, s[34:35], 0, v5, vcc
	v_accvgpr_write_b32 a4, v14
	v_sub_u32_e32 v14, v2, v4
	v_cmp_lt_i32_e64 s[34:35], 15, v11
	s_mov_b64 s[64:65], exec
	s_and_b64 s[34:35], s[64:65], s[34:35]
	v_accvgpr_read_b32 v4, a34
	s_mov_b64 exec, s[34:35]
	s_cbranch_execz .LBB12_765
; %bb.762:                              ;   in Loop: Header=BB12_79 Depth=1
	s_trap 2
	ds_read_b64 v[2:3], v0
	v_add_u32_e32 v10, v1, v0
	v_ashrrev_i32_e32 v1, 31, v10
	s_mov_b64 s[66:67], 0
.LBB12_763:                             ;   Parent Loop BB12_79 Depth=1
                                        ; =>  This Inner Loop Header: Depth=2
	s_waitcnt lgkmcnt(0)
	v_add_co_u32_e64 v24, s[34:35], v2, v10
	v_addc_co_u32_e64 v25, s[34:35], v3, v1, s[34:35]
	global_load_dwordx4 v[18:21], v[24:25], off glc slc
	v_add_co_u32_e64 v10, s[34:35], v10, v43
	v_sub_u32_e32 v11, v11, v50
	v_addc_co_u32_e64 v1, s[34:35], v1, v4, s[34:35]
	v_cmp_gt_i32_e64 s[34:35], 16, v11
	v_sub_u32_e32 v14, v14, v36
	s_or_b64 s[66:67], s[34:35], s[66:67]
	s_waitcnt vmcnt(0)
	global_store_dwordx4 v[24:25], v[18:21], off glc slc
	s_andn2_b64 exec, exec, s[66:67]
	s_cbranch_execnz .LBB12_763
; %bb.764:                              ;   in Loop: Header=BB12_79 Depth=1
	s_or_b64 exec, exec, s[66:67]
	buffer_load_dword v18, off, s[0:3], s33 offset:92 ; 4-byte Folded Reload
	buffer_load_dword v19, off, s[0:3], s33 offset:96 ; 4-byte Folded Reload
	;; [unrolled: 1-line block ×4, first 2 shown]
	v_accvgpr_read_b32 v24, a26
	v_accvgpr_read_b32 v25, a27
.LBB12_765:                             ;   in Loop: Header=BB12_79 Depth=1
	s_or_b64 exec, exec, s[64:65]
	v_and_b32_e32 v1, 15, v58
	v_cndmask_b32_e32 v49, v15, v1, vcc
	v_cmp_ne_u32_e64 s[34:35], 0, v49
	s_mov_b64 s[64:65], 0
	v_mov_b32_e32 v37, 0
                                        ; implicit-def: $vgpr11
                                        ; implicit-def: $vgpr10
	s_and_saveexec_b64 s[66:67], s[34:35]
	s_cbranch_execz .LBB12_767
; %bb.766:                              ;   in Loop: Header=BB12_79 Depth=1
	v_sub_u32_e32 v1, v15, v1
	v_cndmask_b32_e32 v1, 0, v1, vcc
	v_cmp_lt_i32_e32 vcc, 0, v14
	v_add3_u32 v37, v13, v0, v1
	v_cndmask_b32_e32 v0, 0, v36, vcc
	v_sub_u32_e32 v0, v0, v14
	v_lshl_add_u32 v11, v0, 6, v12
	v_ashrrev_i32_e32 v0, 31, v11
	v_lshrrev_b32_e32 v0, 26, v0
	v_add_u32_e32 v0, v11, v0
	s_mov_b64 s[64:65], exec
	v_ashrrev_i32_e32 v10, 6, v0
.LBB12_767:                             ;   in Loop: Header=BB12_79 Depth=1
	s_or_b64 exec, exec, s[66:67]
	s_and_b64 s[64:65], s[64:65], exec
	v_accvgpr_read_b32 v14, a4
.LBB12_768:                             ;   in Loop: Header=BB12_79 Depth=1
	s_or_b64 exec, exec, s[62:63]
.LBB12_769:                             ;   in Loop: Header=BB12_79 Depth=1
	s_and_saveexec_b64 s[34:35], s[64:65]
	s_cbranch_execz .LBB12_778
; %bb.770:                              ;   in Loop: Header=BB12_79 Depth=1
	v_ashrrev_i32_e32 v0, 31, v49
	v_lshrrev_b32_e32 v0, 21, v0
	v_add_u32_e32 v0, v49, v0
	v_ashrrev_i32_e32 v1, 11, v0
	s_waitcnt vmcnt(0)
	v_sub_u32_e32 v19, v1, v10
	v_ashrrev_i32_e32 v0, 31, v11
	v_cmp_lt_i32_e32 vcc, 0, v19
	v_lshrrev_b32_e32 v0, 26, v0
	s_and_saveexec_b64 s[62:63], vcc
	s_cbranch_execz .LBB12_774
; %bb.771:                              ;   in Loop: Header=BB12_79 Depth=1
	s_trap 2
	ds_read_b64 v[2:3], v0
	v_accvgpr_write_b32 a37, v1
	v_add_u32_e32 v1, v11, v0
	v_and_b32_e32 v1, 0xffffffc0, v1
	v_sub_u32_e32 v1, v11, v1
	v_lshlrev_b32_e32 v4, 11, v10
	v_add3_u32 v10, v37, v1, v4
	v_accvgpr_write_b32 a35, v58
	v_accvgpr_write_b32 a18, v14
	;; [unrolled: 1-line block ×4, first 2 shown]
	v_ashrrev_i32_e32 v1, 31, v10
	s_mov_b64 s[64:65], 0
	s_waitcnt lgkmcnt(0)
	v_pk_mov_b32 v[12:13], v[2:3], v[2:3] op_sel:[0,1]
	v_mov_b32_e32 v60, v36
.LBB12_772:                             ;   Parent Loop BB12_79 Depth=1
                                        ; =>  This Inner Loop Header: Depth=2
	v_add_co_u32_e32 v14, vcc, v10, v12
	v_addc_co_u32_e32 v15, vcc, v1, v13, vcc
	flat_load_ubyte v4, v[14:15] glc slc
	flat_load_ubyte v5, v[14:15] offset:64 glc slc
	flat_load_ubyte v16, v[14:15] offset:128 glc slc
	;; [unrolled: 1-line block ×31, first 2 shown]
	v_add_co_u32_e32 v14, vcc, v10, v2
	v_addc_co_u32_e32 v15, vcc, v1, v3, vcc
	v_add_co_u32_e32 v12, vcc, v12, v59
	v_addc_co_u32_e32 v13, vcc, v13, v62, vcc
	v_add_co_u32_e32 v2, vcc, v2, v59
	v_sub_u32_e32 v19, v19, v60
	v_addc_co_u32_e32 v3, vcc, v3, v62, vcc
	v_cmp_gt_i32_e32 vcc, 1, v19
	s_or_b64 s[64:65], vcc, s[64:65]
	s_waitcnt vmcnt(0) lgkmcnt(0)
	flat_store_byte v[14:15], v4 glc slc
	flat_store_byte v[14:15], v5 offset:64 glc slc
	flat_store_byte v[14:15], v16 offset:128 glc slc
	;; [unrolled: 1-line block ×31, first 2 shown]
	s_andn2_b64 exec, exec, s[64:65]
	s_cbranch_execnz .LBB12_772
; %bb.773:                              ;   in Loop: Header=BB12_79 Depth=1
	s_or_b64 exec, exec, s[64:65]
	buffer_load_dword v0, off, s[0:3], s33 offset:92 ; 4-byte Folded Reload
	buffer_load_dword v1, off, s[0:3], s33 offset:96 ; 4-byte Folded Reload
	;; [unrolled: 1-line block ×4, first 2 shown]
	v_accvgpr_read_b32 v41, a1
	v_accvgpr_read_b32 v53, a3
	;; [unrolled: 1-line block ×12, first 2 shown]
	v_mov_b32_e32 v36, v60
	v_accvgpr_read_b32 v29, a19
	v_mov_b32_e32 v47, 1
	v_accvgpr_read_b32 v48, a20
	v_accvgpr_read_b32 v50, a21
	;; [unrolled: 1-line block ×12, first 2 shown]
	s_waitcnt vmcnt(0)
	v_accvgpr_read_b32 v1, a37
	v_mov_b32_e32 v18, v0
	v_accvgpr_read_b32 v0, a36
.LBB12_774:                             ;   in Loop: Header=BB12_79 Depth=1
	s_or_b64 exec, exec, s[62:63]
	v_lshlrev_b32_e32 v1, 11, v1
	v_cmp_ne_u32_e32 vcc, v49, v1
	s_and_b64 exec, exec, vcc
	s_cbranch_execz .LBB12_778
; %bb.775:                              ;   in Loop: Header=BB12_79 Depth=1
	v_add_u32_e32 v0, v11, v0
	v_and_b32_e32 v0, 0xffffffc0, v0
	v_sub_u32_e32 v0, v11, v0
	v_lshlrev_b32_e32 v2, 6, v19
	v_sub_u32_e32 v0, v0, v2
	v_add_u32_e32 v1, v1, v0
	v_sub_u32_e32 v0, v49, v1
	v_cmp_lt_i32_e32 vcc, 0, v0
	s_and_b64 exec, exec, vcc
	s_cbranch_execz .LBB12_778
; %bb.776:                              ;   in Loop: Header=BB12_79 Depth=1
	s_trap 2
	ds_read_b64 v[2:3], v0
	v_add_u32_e32 v10, v1, v37
	v_ashrrev_i32_e32 v1, 31, v10
	s_mov_b64 s[62:63], 0
.LBB12_777:                             ;   Parent Loop BB12_79 Depth=1
                                        ; =>  This Inner Loop Header: Depth=2
	s_waitcnt lgkmcnt(0)
	v_add_co_u32_e32 v12, vcc, v2, v10
	v_addc_co_u32_e32 v13, vcc, v3, v1, vcc
	flat_load_ubyte v4, v[12:13] glc slc
	v_add_co_u32_e32 v10, vcc, v10, v55
	v_sub_u32_e32 v0, v0, v29
	v_addc_co_u32_e32 v1, vcc, v1, v26, vcc
	v_cmp_gt_i32_e32 vcc, 1, v0
	s_or_b64 s[62:63], vcc, s[62:63]
	s_waitcnt vmcnt(0) lgkmcnt(0)
	flat_store_byte v[12:13], v4 glc slc
	s_andn2_b64 exec, exec, s[62:63]
	s_cbranch_execnz .LBB12_777
.LBB12_778:                             ;   in Loop: Header=BB12_79 Depth=1
	s_or_b64 exec, exec, s[34:35]
	v_cmp_lt_i32_e64 s[34:35], 0, v58
	s_and_saveexec_b64 s[62:63], s[14:15]
	s_cbranch_execnz .LBB12_785
.LBB12_779:                             ;   in Loop: Header=BB12_79 Depth=1
	s_or_b64 exec, exec, s[62:63]
                                        ; implicit-def: $vgpr0
	s_and_saveexec_b64 vcc, s[28:29]
	s_xor_b64 s[62:63], exec, vcc
	s_cbranch_execz .LBB12_822
.LBB12_780:                             ;   in Loop: Header=BB12_79 Depth=1
	v_and_b32_e32 v1, 16, v46
	v_cmp_ne_u32_e32 vcc, 0, v1
	v_and_b32_e32 v0, 16, v46
	s_and_b64 s[34:35], vcc, s[34:35]
	s_and_saveexec_b64 vcc, s[34:35]
	s_cbranch_execz .LBB12_782
; %bb.781:                              ;   in Loop: Header=BB12_79 Depth=1
	v_mov_b32_e32 v0, 1
	s_waitcnt vmcnt(0) lgkmcnt(0)
	buffer_wbinvl1_vol
.LBB12_782:                             ;   in Loop: Header=BB12_79 Depth=1
	s_or_b64 exec, exec, vcc
	s_andn2_saveexec_b64 s[34:35], s[62:63]
	s_cbranch_execnz .LBB12_823
.LBB12_783:                             ;   in Loop: Header=BB12_79 Depth=1
	s_or_b64 exec, exec, s[34:35]
	v_cmp_ne_u32_e32 vcc, 0, v0
	s_and_saveexec_b64 s[34:35], vcc
	s_cbranch_execnz .LBB12_890
	s_branch .LBB12_893
.LBB12_784:                             ;   in Loop: Header=BB12_79 Depth=1
	s_and_saveexec_b64 s[62:63], s[14:15]
	s_cbranch_execz .LBB12_779
.LBB12_785:                             ;   in Loop: Header=BB12_79 Depth=1
	s_and_saveexec_b64 vcc, s[52:53]
	s_xor_b64 s[64:65], exec, vcc
	s_cbranch_execz .LBB12_819
; %bb.786:                              ;   in Loop: Header=BB12_79 Depth=1
	s_and_saveexec_b64 s[66:67], s[20:21]
	s_cbranch_execz .LBB12_818
; %bb.787:                              ;   in Loop: Header=BB12_79 Depth=1
	s_mov_b64 s[70:71], exec
	v_mbcnt_lo_u32_b32 v0, s70, 0
	v_mbcnt_hi_u32_b32 v0, s71, v0
	v_cmp_eq_u32_e32 vcc, 0, v0
	s_waitcnt vmcnt(0) lgkmcnt(0)
	buffer_wbinvl1_vol
	s_and_saveexec_b64 s[68:69], vcc
	s_cbranch_execz .LBB12_789
; %bb.788:                              ;   in Loop: Header=BB12_79 Depth=1
	s_bcnt1_i32_b64 vcc_lo, s[70:71]
	v_mov_b32_e32 v0, vcc_lo
	v_mov_b32_e32 v1, v16
	ds_add_u64 v0, v[0:1]
	s_trap 2
.LBB12_789:                             ;   in Loop: Header=BB12_79 Depth=1
	s_or_b64 exec, exec, s[68:69]
	s_trap 2
	ds_read_b64 v[0:1], v0
	v_add_co_u32_e32 v32, vcc, v32, v36
	v_addc_co_u32_e32 v33, vcc, 0, v33, vcc
	s_waitcnt lgkmcnt(0)
	v_cmp_lt_u64_e32 vcc, v[0:1], v[32:33]
	s_and_saveexec_b64 s[68:69], vcc
	s_cbranch_execz .LBB12_817
; %bb.790:                              ;   in Loop: Header=BB12_79 Depth=1
	s_mov_b32 s85, 0
	s_mov_b64 s[70:71], 0
                                        ; implicit-def: $sgpr72_sgpr73
                                        ; implicit-def: $sgpr74_sgpr75
	s_branch .LBB12_792
.LBB12_791:                             ;   in Loop: Header=BB12_792 Depth=2
	s_or_b64 exec, exec, s[78:79]
	s_and_b64 vcc, exec, vcc
	s_or_b64 s[70:71], vcc, s[70:71]
	s_andn2_b64 vcc, s[72:73], exec
	s_and_b64 s[72:73], s[74:75], exec
	s_or_b64 s[72:73], vcc, s[72:73]
	s_andn2_b64 exec, exec, s[70:71]
	s_cbranch_execz .LBB12_815
.LBB12_792:                             ;   Parent Loop BB12_79 Depth=1
                                        ; =>  This Inner Loop Header: Depth=2
	s_add_i32 s85, s85, 1
	s_cmpk_lg_i32 s85, 0x2710
	s_cselect_b64 s[76:77], -1, 0
	s_and_b64 vcc, exec, s[76:77]
                                        ; implicit-def: $sgpr78_sgpr79
	s_cbranch_vccnz .LBB12_794
; %bb.793:                              ;   in Loop: Header=BB12_792 Depth=2
	s_trap 2
	ds_read_b64 v[0:1], v0
	s_andn2_b64 s[76:77], s[76:77], exec
	s_mov_b32 s85, 0
	s_mov_b64 s[78:79], -1
	s_waitcnt lgkmcnt(0)
	flat_load_dword v0, v[0:1] glc
	s_waitcnt vmcnt(0) lgkmcnt(0)
	buffer_invl2
	buffer_wbinvl1_vol
	v_cmp_eq_u32_e32 vcc, 0, v0
	s_and_b64 vcc, vcc, exec
	s_or_b64 s[76:77], s[76:77], vcc
.LBB12_794:                             ;   in Loop: Header=BB12_792 Depth=2
	s_andn2_b64 s[74:75], s[74:75], exec
	s_and_b64 s[78:79], s[78:79], exec
	s_mov_b64 vcc, -1
	s_or_b64 s[74:75], s[74:75], s[78:79]
	s_and_saveexec_b64 s[78:79], s[76:77]
	s_cbranch_execz .LBB12_791
; %bb.795:                              ;   in Loop: Header=BB12_792 Depth=2
	s_sleep 1
	s_trap 2
	ds_read_b64 v[0:1], v0
	s_andn2_b64 s[74:75], s[74:75], exec
	s_waitcnt lgkmcnt(0)
	v_cmp_ge_u64_e32 vcc, v[0:1], v[32:33]
	s_orn2_b64 vcc, vcc, exec
	s_branch .LBB12_791
.LBB12_796:                             ;   in Loop: Header=BB12_79 Depth=1
	s_or_b64 exec, exec, s[68:69]
	s_and_saveexec_b64 vcc, s[70:71]
	s_xor_b64 vcc, exec, vcc
	s_cbranch_execz .LBB12_798
; %bb.797:                              ;   in Loop: Header=BB12_79 Depth=1
	ds_write_b32 v0, v47
	s_trap 2
.LBB12_798:                             ;   in Loop: Header=BB12_79 Depth=1
	s_or_b64 exec, exec, s[66:67]
	;;#ASMSTART
	s_wakeup
	;;#ASMEND
.LBB12_799:                             ;   in Loop: Header=BB12_79 Depth=1
	s_or_b64 exec, exec, s[64:65]
.LBB12_800:                             ;   in Loop: Header=BB12_79 Depth=1
	s_andn2_saveexec_b64 vcc, s[62:63]
	s_cbranch_execz .LBB12_802
; %bb.801:                              ;   in Loop: Header=BB12_79 Depth=1
	s_waitcnt vmcnt(0) lgkmcnt(0)
	buffer_wbinvl1_vol
	s_barrier
.LBB12_802:                             ;   in Loop: Header=BB12_79 Depth=1
	s_or_b64 exec, exec, vcc
	s_or_b64 exec, exec, s[58:59]
	s_and_saveexec_b64 vcc, s[28:29]
	s_xor_b64 s[58:59], exec, vcc
	s_cbranch_execnz .LBB12_728
.LBB12_803:                             ;   in Loop: Header=BB12_79 Depth=1
	s_andn2_saveexec_b64 s[36:37], s[58:59]
	s_cbranch_execz .LBB12_841
.LBB12_804:                             ;   in Loop: Header=BB12_79 Depth=1
	s_and_saveexec_b64 vcc, s[52:53]
	s_xor_b64 s[58:59], exec, vcc
	s_cbranch_execz .LBB12_838
; %bb.805:                              ;   in Loop: Header=BB12_79 Depth=1
	s_and_saveexec_b64 s[62:63], s[20:21]
	s_cbranch_execz .LBB12_837
; %bb.806:                              ;   in Loop: Header=BB12_79 Depth=1
	s_mov_b64 s[66:67], exec
	v_mbcnt_lo_u32_b32 v0, s66, 0
	v_mbcnt_hi_u32_b32 v0, s67, v0
	v_cmp_eq_u32_e32 vcc, 0, v0
	;;#ASMSTART
	s_waitcnt lgkmcnt(0) vmcnt(0)
	;;#ASMEND
	s_and_saveexec_b64 s[64:65], vcc
	s_cbranch_execz .LBB12_808
; %bb.807:                              ;   in Loop: Header=BB12_79 Depth=1
	s_bcnt1_i32_b64 vcc_lo, s[66:67]
	v_mov_b32_e32 v0, vcc_lo
	v_mov_b32_e32 v1, v16
	ds_add_u64 v0, v[0:1]
	s_trap 2
.LBB12_808:                             ;   in Loop: Header=BB12_79 Depth=1
	s_or_b64 exec, exec, s[64:65]
	s_trap 2
	ds_read_b64 v[0:1], v0
	v_add_co_u32_e32 v32, vcc, v32, v36
	v_addc_co_u32_e32 v33, vcc, 0, v33, vcc
	s_waitcnt lgkmcnt(0)
	v_cmp_lt_u64_e32 vcc, v[0:1], v[32:33]
	s_and_saveexec_b64 s[64:65], vcc
	s_cbranch_execz .LBB12_836
; %bb.809:                              ;   in Loop: Header=BB12_79 Depth=1
	s_mov_b32 s76, 0
	s_mov_b64 s[66:67], 0
                                        ; implicit-def: $sgpr68_sgpr69
                                        ; implicit-def: $sgpr70_sgpr71
	s_branch .LBB12_811
.LBB12_810:                             ;   in Loop: Header=BB12_811 Depth=2
	s_or_b64 exec, exec, s[74:75]
	s_and_b64 vcc, exec, vcc
	s_or_b64 s[66:67], vcc, s[66:67]
	s_andn2_b64 vcc, s[68:69], exec
	s_and_b64 s[68:69], s[70:71], exec
	s_or_b64 s[68:69], vcc, s[68:69]
	s_andn2_b64 exec, exec, s[66:67]
	s_cbranch_execz .LBB12_834
.LBB12_811:                             ;   Parent Loop BB12_79 Depth=1
                                        ; =>  This Inner Loop Header: Depth=2
	s_add_i32 s76, s76, 1
	s_cmpk_lg_i32 s76, 0x2710
	s_cselect_b64 s[72:73], -1, 0
	s_and_b64 vcc, exec, s[72:73]
                                        ; implicit-def: $sgpr74_sgpr75
	s_cbranch_vccnz .LBB12_813
; %bb.812:                              ;   in Loop: Header=BB12_811 Depth=2
	s_trap 2
	ds_read_b64 v[0:1], v0
	s_andn2_b64 s[72:73], s[72:73], exec
	s_mov_b32 s76, 0
	s_mov_b64 s[74:75], -1
	s_waitcnt vmcnt(0) lgkmcnt(0)
	flat_load_dword v0, v[0:1] glc
	s_waitcnt vmcnt(0) lgkmcnt(0)
	buffer_invl2
	buffer_wbinvl1_vol
	v_cmp_eq_u32_e32 vcc, 0, v0
	s_and_b64 vcc, vcc, exec
	s_or_b64 s[72:73], s[72:73], vcc
.LBB12_813:                             ;   in Loop: Header=BB12_811 Depth=2
	s_andn2_b64 s[70:71], s[70:71], exec
	s_and_b64 s[74:75], s[74:75], exec
	s_mov_b64 vcc, -1
	s_or_b64 s[70:71], s[70:71], s[74:75]
	s_and_saveexec_b64 s[74:75], s[72:73]
	s_cbranch_execz .LBB12_810
; %bb.814:                              ;   in Loop: Header=BB12_811 Depth=2
	s_sleep 1
	s_trap 2
	ds_read_b64 v[0:1], v0
	s_andn2_b64 s[70:71], s[70:71], exec
	s_waitcnt lgkmcnt(0)
	v_cmp_ge_u64_e32 vcc, v[0:1], v[32:33]
	s_orn2_b64 vcc, vcc, exec
	s_branch .LBB12_810
.LBB12_815:                             ;   in Loop: Header=BB12_79 Depth=1
	s_or_b64 exec, exec, s[70:71]
	s_and_saveexec_b64 vcc, s[72:73]
	s_xor_b64 vcc, exec, vcc
	s_cbranch_execz .LBB12_817
; %bb.816:                              ;   in Loop: Header=BB12_79 Depth=1
	ds_write_b32 v0, v47
	s_trap 2
.LBB12_817:                             ;   in Loop: Header=BB12_79 Depth=1
	s_or_b64 exec, exec, s[68:69]
	;;#ASMSTART
	s_wakeup
	;;#ASMEND
.LBB12_818:                             ;   in Loop: Header=BB12_79 Depth=1
	s_or_b64 exec, exec, s[66:67]
.LBB12_819:                             ;   in Loop: Header=BB12_79 Depth=1
	s_andn2_saveexec_b64 vcc, s[64:65]
	s_cbranch_execz .LBB12_821
; %bb.820:                              ;   in Loop: Header=BB12_79 Depth=1
	s_waitcnt vmcnt(0) lgkmcnt(0)
	buffer_wbinvl1_vol
	s_barrier
.LBB12_821:                             ;   in Loop: Header=BB12_79 Depth=1
	s_or_b64 exec, exec, vcc
	s_or_b64 exec, exec, s[62:63]
                                        ; implicit-def: $vgpr0
	s_and_saveexec_b64 vcc, s[28:29]
	s_xor_b64 s[62:63], exec, vcc
	s_cbranch_execnz .LBB12_780
.LBB12_822:                             ;   in Loop: Header=BB12_79 Depth=1
	s_andn2_saveexec_b64 s[34:35], s[62:63]
	s_cbranch_execz .LBB12_783
.LBB12_823:                             ;   in Loop: Header=BB12_79 Depth=1
	s_and_saveexec_b64 vcc, s[52:53]
	s_xor_b64 s[62:63], exec, vcc
	s_cbranch_execz .LBB12_887
; %bb.824:                              ;   in Loop: Header=BB12_79 Depth=1
	s_and_saveexec_b64 s[64:65], s[20:21]
	s_cbranch_execz .LBB12_886
; %bb.825:                              ;   in Loop: Header=BB12_79 Depth=1
	s_mov_b64 s[68:69], exec
	v_mbcnt_lo_u32_b32 v0, s68, 0
	v_mbcnt_hi_u32_b32 v0, s69, v0
	v_cmp_eq_u32_e32 vcc, 0, v0
	;;#ASMSTART
	s_waitcnt lgkmcnt(0) vmcnt(0)
	;;#ASMEND
	s_and_saveexec_b64 s[66:67], vcc
	s_cbranch_execz .LBB12_827
; %bb.826:                              ;   in Loop: Header=BB12_79 Depth=1
	s_bcnt1_i32_b64 vcc_lo, s[68:69]
	v_mov_b32_e32 v0, vcc_lo
	v_mov_b32_e32 v1, v16
	ds_add_u64 v0, v[0:1]
	s_trap 2
.LBB12_827:                             ;   in Loop: Header=BB12_79 Depth=1
	s_or_b64 exec, exec, s[66:67]
	s_trap 2
	ds_read_b64 v[0:1], v0
	v_add_co_u32_e32 v32, vcc, v32, v36
	v_addc_co_u32_e32 v33, vcc, 0, v33, vcc
	s_waitcnt lgkmcnt(0)
	v_cmp_lt_u64_e32 vcc, v[0:1], v[32:33]
	s_and_saveexec_b64 s[66:67], vcc
	s_cbranch_execz .LBB12_885
; %bb.828:                              ;   in Loop: Header=BB12_79 Depth=1
	s_mov_b32 s78, 0
	s_mov_b64 s[68:69], 0
                                        ; implicit-def: $sgpr70_sgpr71
                                        ; implicit-def: $sgpr72_sgpr73
	s_branch .LBB12_830
.LBB12_829:                             ;   in Loop: Header=BB12_830 Depth=2
	s_or_b64 exec, exec, s[76:77]
	s_and_b64 vcc, exec, vcc
	s_or_b64 s[68:69], vcc, s[68:69]
	s_andn2_b64 vcc, s[70:71], exec
	s_and_b64 s[70:71], s[72:73], exec
	s_or_b64 s[70:71], vcc, s[70:71]
	s_andn2_b64 exec, exec, s[68:69]
	s_cbranch_execz .LBB12_883
.LBB12_830:                             ;   Parent Loop BB12_79 Depth=1
                                        ; =>  This Inner Loop Header: Depth=2
	s_add_i32 s78, s78, 1
	s_cmpk_lg_i32 s78, 0x2710
	s_cselect_b64 s[74:75], -1, 0
	s_and_b64 vcc, exec, s[74:75]
                                        ; implicit-def: $sgpr76_sgpr77
	s_cbranch_vccnz .LBB12_832
; %bb.831:                              ;   in Loop: Header=BB12_830 Depth=2
	s_trap 2
	ds_read_b64 v[0:1], v0
	s_andn2_b64 s[74:75], s[74:75], exec
	s_mov_b32 s78, 0
	s_mov_b64 s[76:77], -1
	s_waitcnt vmcnt(0) lgkmcnt(0)
	flat_load_dword v0, v[0:1] glc
	s_waitcnt vmcnt(0) lgkmcnt(0)
	buffer_invl2
	buffer_wbinvl1_vol
	v_cmp_eq_u32_e32 vcc, 0, v0
	s_and_b64 vcc, vcc, exec
	s_or_b64 s[74:75], s[74:75], vcc
.LBB12_832:                             ;   in Loop: Header=BB12_830 Depth=2
	s_andn2_b64 s[72:73], s[72:73], exec
	s_and_b64 s[76:77], s[76:77], exec
	s_mov_b64 vcc, -1
	s_or_b64 s[72:73], s[72:73], s[76:77]
	s_and_saveexec_b64 s[76:77], s[74:75]
	s_cbranch_execz .LBB12_829
; %bb.833:                              ;   in Loop: Header=BB12_830 Depth=2
	s_sleep 1
	s_trap 2
	ds_read_b64 v[0:1], v0
	s_andn2_b64 s[72:73], s[72:73], exec
	s_waitcnt lgkmcnt(0)
	v_cmp_ge_u64_e32 vcc, v[0:1], v[32:33]
	s_orn2_b64 vcc, vcc, exec
	s_branch .LBB12_829
.LBB12_834:                             ;   in Loop: Header=BB12_79 Depth=1
	s_or_b64 exec, exec, s[66:67]
	s_and_saveexec_b64 vcc, s[68:69]
	s_xor_b64 vcc, exec, vcc
	s_cbranch_execz .LBB12_836
; %bb.835:                              ;   in Loop: Header=BB12_79 Depth=1
	ds_write_b32 v0, v47
	s_trap 2
.LBB12_836:                             ;   in Loop: Header=BB12_79 Depth=1
	s_or_b64 exec, exec, s[64:65]
	;;#ASMSTART
	s_wakeup
	;;#ASMEND
.LBB12_837:                             ;   in Loop: Header=BB12_79 Depth=1
	s_or_b64 exec, exec, s[62:63]
.LBB12_838:                             ;   in Loop: Header=BB12_79 Depth=1
	s_andn2_saveexec_b64 vcc, s[58:59]
	s_cbranch_execz .LBB12_840
; %bb.839:                              ;   in Loop: Header=BB12_79 Depth=1
	;;#ASMSTART
	s_waitcnt lgkmcnt(0) vmcnt(0)
	;;#ASMEND
	s_barrier
.LBB12_840:                             ;   in Loop: Header=BB12_79 Depth=1
	s_or_b64 exec, exec, vcc
.LBB12_841:                             ;   in Loop: Header=BB12_79 Depth=1
	s_or_b64 exec, exec, s[36:37]
	v_and_b32_e32 v0, 32, v46
	v_cmp_ne_u32_e32 vcc, 0, v0
	s_and_saveexec_b64 s[36:37], vcc
	s_cbranch_execz .LBB12_843
; %bb.842:                              ;   in Loop: Header=BB12_79 Depth=1
	v_add_co_u32_e32 v8, vcc, 1, v8
	v_addc_co_u32_e32 v9, vcc, 0, v9, vcc
	flat_store_dwordx2 v[22:23], v[8:9]
.LBB12_843:                             ;   in Loop: Header=BB12_79 Depth=1
	s_or_b64 exec, exec, s[36:37]
	v_mov_b32_e32 v1, v42
.LBB12_844:                             ;   in Loop: Header=BB12_79 Depth=1
	s_or_b64 exec, exec, s[42:43]
	s_mov_b64 vcc, s[38:39]
	s_and_saveexec_b64 s[42:43], s[30:31]
	s_cbranch_execz .LBB12_993
; %bb.845:                              ;   in Loop: Header=BB12_79 Depth=1
	v_and_b32_e32 v0, 4, v46
	v_cmp_ne_u32_e32 vcc, 0, v0
	s_mov_b64 s[58:59], -1
	s_and_saveexec_b64 s[36:37], vcc
	s_cbranch_execz .LBB12_855
; %bb.846:                              ;   in Loop: Header=BB12_79 Depth=1
	v_add_co_u32_e32 v2, vcc, 1, v8
	v_addc_co_u32_e32 v3, vcc, 0, v9, vcc
	v_cmp_lt_u64_e32 vcc, v[34:35], v[2:3]
	v_mov_b32_e32 v0, 1
	s_and_saveexec_b64 s[58:59], vcc
	s_cbranch_execz .LBB12_870
; %bb.847:                              ;   in Loop: Header=BB12_79 Depth=1
	s_mov_b64 s[62:63], 0
	v_mov_b32_e32 v0, 0
                                        ; implicit-def: $sgpr64_sgpr65
	s_branch .LBB12_851
.LBB12_848:                             ;   in Loop: Header=BB12_851 Depth=2
	s_or_b64 exec, exec, s[72:73]
	v_mov_b32_e32 v10, 0
	s_orn2_b64 s[70:71], s[70:71], exec
.LBB12_849:                             ;   in Loop: Header=BB12_851 Depth=2
	s_or_b64 exec, exec, s[68:69]
	s_andn2_b64 vcc, s[64:65], exec
	s_and_b64 s[64:65], s[70:71], exec
	s_or_b64 s[64:65], vcc, s[64:65]
	v_mov_b32_e32 v0, v10
.LBB12_850:                             ;   in Loop: Header=BB12_851 Depth=2
	s_or_b64 exec, exec, s[66:67]
	s_waitcnt vmcnt(0) lgkmcnt(0)
	v_cmp_ge_u64_e32 vcc, v[34:35], v[2:3]
	s_xor_b64 s[66:67], s[64:65], -1
	s_or_b64 vcc, s[66:67], vcc
	s_and_b64 vcc, exec, vcc
	s_or_b64 s[62:63], vcc, s[62:63]
	s_andn2_b64 exec, exec, s[62:63]
	s_cbranch_execz .LBB12_869
.LBB12_851:                             ;   Parent Loop BB12_79 Depth=1
                                        ; =>  This Inner Loop Header: Depth=2
	s_sleep 1
	flat_load_dwordx2 v[34:35], v[22:23] glc
	v_and_b32_e32 v4, 64, v46
	v_cmp_eq_u32_e32 vcc, 0, v4
	s_andn2_b64 s[64:65], s[64:65], exec
	s_and_saveexec_b64 s[66:67], vcc
	s_cbranch_execz .LBB12_850
; %bb.852:                              ;   in Loop: Header=BB12_851 Depth=2
	v_add_u32_e32 v10, 1, v0
	v_cmp_lt_i32_e32 vcc, s82, v0
	s_mov_b64 s[70:71], -1
	s_and_saveexec_b64 s[68:69], vcc
	s_cbranch_execz .LBB12_849
; %bb.853:                              ;   in Loop: Header=BB12_851 Depth=2
	s_trap 2
	ds_read_b64 v[4:5], v0
	s_waitcnt vmcnt(0) lgkmcnt(0)
	flat_load_dword v0, v[4:5] glc
	s_waitcnt vmcnt(0) lgkmcnt(0)
	buffer_invl2
	buffer_wbinvl1_vol
	v_cmp_ne_u32_e32 vcc, 0, v0
	s_and_saveexec_b64 s[72:73], vcc
	s_cbranch_execz .LBB12_848
; %bb.854:                              ;   in Loop: Header=BB12_851 Depth=2
	v_or_b32_e32 v46, 64, v46
	s_xor_b64 s[70:71], exec, -1
	ds_write_b32 v0, v0
	s_trap 2
	s_branch .LBB12_848
.LBB12_855:                             ;   in Loop: Header=BB12_79 Depth=1
	s_or_b64 exec, exec, s[36:37]
	s_xor_b64 vcc, s[58:59], -1
	s_and_saveexec_b64 s[58:59], vcc
	s_cbranch_execz .LBB12_871
.LBB12_856:                             ;   in Loop: Header=BB12_79 Depth=1
	v_and_b32_e32 v0, 0x100, v46
	v_cmp_ne_u32_e32 vcc, 0, v0
	v_and_b32_e32 v0, 7, v8
	s_mov_b64 s[36:37], -1
                                        ; implicit-def: $vgpr2_vgpr3
	s_and_saveexec_b64 s[62:63], vcc
	s_cbranch_execz .LBB12_860
; %bb.857:                              ;   in Loop: Header=BB12_79 Depth=1
	v_mad_u64_u32 v[12:13], vcc, v0, 24, v[6:7]
	flat_load_dword v2, v[12:13]
	s_waitcnt vmcnt(0) lgkmcnt(0)
	v_cmp_ne_u32_e32 vcc, 1, v2
	v_cmp_eq_u32_e64 s[36:37], 1, v2
                                        ; implicit-def: $vgpr2_vgpr3
	s_and_saveexec_b64 s[64:65], s[36:37]
	s_cbranch_execz .LBB12_859
; %bb.858:                              ;   in Loop: Header=BB12_79 Depth=1
	flat_load_dword v2, v[12:13] offset:4 glc
	s_waitcnt vmcnt(0) lgkmcnt(0)
	v_ashrrev_i32_e32 v3, 31, v2
.LBB12_859:                             ;   in Loop: Header=BB12_79 Depth=1
	s_or_b64 exec, exec, s[64:65]
	s_orn2_b64 s[36:37], vcc, exec
.LBB12_860:                             ;   in Loop: Header=BB12_79 Depth=1
	s_or_b64 exec, exec, s[62:63]
	s_and_saveexec_b64 vcc, s[36:37]
; %bb.861:                              ;   in Loop: Header=BB12_79 Depth=1
	v_mad_i64_i32 v[2:3], s[36:37], v0, v30, 0
; %bb.862:                              ;   in Loop: Header=BB12_79 Depth=1
	s_or_b64 exec, exec, vcc
	v_add_co_u32_e32 v2, vcc, v56, v2
	v_addc_co_u32_e32 v3, vcc, v57, v3, vcc
	ds_write_b64 v0, v[2:3] offset:720
	v_and_b32_e32 v0, 0x2000, v46
	v_cmp_ne_u32_e32 vcc, 0, v0
	s_and_saveexec_b64 s[36:37], vcc
	s_cbranch_execz .LBB12_864
; %bb.863:                              ;   in Loop: Header=BB12_79 Depth=1
	ds_read_b64 v[2:3], v0 offset:584
	s_waitcnt lgkmcnt(0)
	v_add_co_u32_e32 v2, vcc, 1, v2
	v_addc_co_u32_e32 v3, vcc, 0, v3, vcc
	ds_write_b64 v0, v[2:3] offset:584
.LBB12_864:                             ;   in Loop: Header=BB12_79 Depth=1
	s_or_b64 exec, exec, s[36:37]
	v_add_co_u32_e32 v8, vcc, 1, v8
	v_addc_co_u32_e32 v9, vcc, 0, v9, vcc
	s_or_b64 exec, exec, s[58:59]
	s_and_saveexec_b64 s[36:37], s[14:15]
	s_cbranch_execnz .LBB12_872
.LBB12_865:                             ;   in Loop: Header=BB12_79 Depth=1
	s_or_b64 exec, exec, s[36:37]
	s_and_saveexec_b64 vcc, s[28:29]
	s_xor_b64 s[36:37], exec, vcc
	s_cbranch_execz .LBB12_948
.LBB12_866:                             ;   in Loop: Header=BB12_79 Depth=1
	s_trap 2
	ds_read_b32 v0, v0
	v_sub_u32_e32 v1, v14, v1
	v_min_i32_e32 v1, v42, v1
	v_cmp_lt_i32_e32 vcc, 0, v1
	s_waitcnt lgkmcnt(0)
	v_readfirstlane_b32 s58, v0
	s_cmp_eq_u32 s58, 0
	s_cselect_b64 s[58:59], -1, 0
	v_and_b32_e32 v0, 16, v46
	s_and_b64 s[58:59], vcc, s[58:59]
	v_cmp_ne_u32_e32 vcc, 0, v0
	s_and_b64 s[58:59], vcc, s[58:59]
	s_and_saveexec_b64 vcc, s[58:59]
	s_cbranch_execz .LBB12_868
; %bb.867:                              ;   in Loop: Header=BB12_79 Depth=1
	s_waitcnt vmcnt(0)
	buffer_wbinvl1_vol
.LBB12_868:                             ;   in Loop: Header=BB12_79 Depth=1
	s_or_b64 exec, exec, vcc
	s_andn2_saveexec_b64 s[36:37], s[36:37]
	s_cbranch_execz .LBB12_992
	s_branch .LBB12_949
.LBB12_869:                             ;   in Loop: Header=BB12_79 Depth=1
	s_or_b64 exec, exec, s[62:63]
	v_and_b32_e32 v0, 4, v46
.LBB12_870:                             ;   in Loop: Header=BB12_79 Depth=1
	s_or_b64 exec, exec, s[58:59]
	v_cmp_eq_u32_e32 vcc, 0, v0
	s_orn2_b64 s[58:59], vcc, exec
	;;#ASMSTART
	s_wakeup
	;;#ASMEND
	s_or_b64 exec, exec, s[36:37]
	s_xor_b64 vcc, s[58:59], -1
	s_and_saveexec_b64 s[58:59], vcc
	s_cbranch_execnz .LBB12_856
.LBB12_871:                             ;   in Loop: Header=BB12_79 Depth=1
	s_or_b64 exec, exec, s[58:59]
	s_and_saveexec_b64 s[36:37], s[14:15]
	s_cbranch_execz .LBB12_865
.LBB12_872:                             ;   in Loop: Header=BB12_79 Depth=1
	s_and_saveexec_b64 vcc, s[52:53]
	s_xor_b64 s[58:59], exec, vcc
	s_cbranch_execz .LBB12_945
; %bb.873:                              ;   in Loop: Header=BB12_79 Depth=1
	s_and_saveexec_b64 s[62:63], s[20:21]
	s_cbranch_execz .LBB12_944
; %bb.874:                              ;   in Loop: Header=BB12_79 Depth=1
	s_mov_b64 s[66:67], exec
	v_mbcnt_lo_u32_b32 v0, s66, 0
	v_mbcnt_hi_u32_b32 v0, s67, v0
	v_cmp_eq_u32_e32 vcc, 0, v0
	s_waitcnt vmcnt(0) lgkmcnt(0)
	buffer_wbinvl1_vol
	s_and_saveexec_b64 s[64:65], vcc
	s_cbranch_execz .LBB12_876
; %bb.875:                              ;   in Loop: Header=BB12_79 Depth=1
	s_bcnt1_i32_b64 vcc_lo, s[66:67]
	v_mov_b32_e32 v2, vcc_lo
	v_mov_b32_e32 v3, v16
	ds_add_u64 v0, v[2:3]
	s_trap 2
.LBB12_876:                             ;   in Loop: Header=BB12_79 Depth=1
	s_or_b64 exec, exec, s[64:65]
	s_trap 2
	ds_read_b64 v[2:3], v0
	v_add_co_u32_e32 v32, vcc, v32, v36
	v_addc_co_u32_e32 v33, vcc, 0, v33, vcc
	s_waitcnt lgkmcnt(0)
	v_cmp_lt_u64_e32 vcc, v[2:3], v[32:33]
	s_and_saveexec_b64 s[64:65], vcc
	s_cbranch_execz .LBB12_943
; %bb.877:                              ;   in Loop: Header=BB12_79 Depth=1
	s_mov_b32 s76, 0
	s_mov_b64 s[66:67], 0
                                        ; implicit-def: $sgpr68_sgpr69
                                        ; implicit-def: $sgpr70_sgpr71
	s_branch .LBB12_879
.LBB12_878:                             ;   in Loop: Header=BB12_879 Depth=2
	s_or_b64 exec, exec, s[74:75]
	s_and_b64 vcc, exec, vcc
	s_or_b64 s[66:67], vcc, s[66:67]
	s_andn2_b64 vcc, s[68:69], exec
	s_and_b64 s[68:69], s[70:71], exec
	s_or_b64 s[68:69], vcc, s[68:69]
	s_andn2_b64 exec, exec, s[66:67]
	s_cbranch_execz .LBB12_941
.LBB12_879:                             ;   Parent Loop BB12_79 Depth=1
                                        ; =>  This Inner Loop Header: Depth=2
	s_add_i32 s76, s76, 1
	s_cmpk_lg_i32 s76, 0x2710
	s_cselect_b64 s[72:73], -1, 0
	s_and_b64 vcc, exec, s[72:73]
                                        ; implicit-def: $sgpr74_sgpr75
	s_cbranch_vccnz .LBB12_881
; %bb.880:                              ;   in Loop: Header=BB12_879 Depth=2
	s_trap 2
	ds_read_b64 v[2:3], v0
	s_andn2_b64 s[72:73], s[72:73], exec
	s_mov_b32 s76, 0
	s_mov_b64 s[74:75], -1
	s_waitcnt lgkmcnt(0)
	flat_load_dword v0, v[2:3] glc
	s_waitcnt vmcnt(0) lgkmcnt(0)
	buffer_invl2
	buffer_wbinvl1_vol
	v_cmp_eq_u32_e32 vcc, 0, v0
	s_and_b64 vcc, vcc, exec
	s_or_b64 s[72:73], s[72:73], vcc
.LBB12_881:                             ;   in Loop: Header=BB12_879 Depth=2
	s_andn2_b64 s[70:71], s[70:71], exec
	s_and_b64 s[74:75], s[74:75], exec
	s_mov_b64 vcc, -1
	s_or_b64 s[70:71], s[70:71], s[74:75]
	s_and_saveexec_b64 s[74:75], s[72:73]
	s_cbranch_execz .LBB12_878
; %bb.882:                              ;   in Loop: Header=BB12_879 Depth=2
	s_sleep 1
	s_trap 2
	ds_read_b64 v[2:3], v0
	s_andn2_b64 s[70:71], s[70:71], exec
	s_waitcnt lgkmcnt(0)
	v_cmp_ge_u64_e32 vcc, v[2:3], v[32:33]
	s_orn2_b64 vcc, vcc, exec
	s_branch .LBB12_878
.LBB12_883:                             ;   in Loop: Header=BB12_79 Depth=1
	s_or_b64 exec, exec, s[68:69]
	s_and_saveexec_b64 vcc, s[70:71]
	s_xor_b64 vcc, exec, vcc
	s_cbranch_execz .LBB12_885
; %bb.884:                              ;   in Loop: Header=BB12_79 Depth=1
	ds_write_b32 v0, v47
	s_trap 2
.LBB12_885:                             ;   in Loop: Header=BB12_79 Depth=1
	s_or_b64 exec, exec, s[66:67]
	;;#ASMSTART
	s_wakeup
	;;#ASMEND
.LBB12_886:                             ;   in Loop: Header=BB12_79 Depth=1
	s_or_b64 exec, exec, s[64:65]
.LBB12_887:                             ;   in Loop: Header=BB12_79 Depth=1
	s_andn2_saveexec_b64 vcc, s[62:63]
	s_cbranch_execz .LBB12_889
; %bb.888:                              ;   in Loop: Header=BB12_79 Depth=1
	;;#ASMSTART
	s_waitcnt lgkmcnt(0) vmcnt(0)
	;;#ASMEND
	s_barrier
.LBB12_889:                             ;   in Loop: Header=BB12_79 Depth=1
	s_or_b64 exec, exec, vcc
	v_and_b32_e32 v0, 16, v46
	s_or_b64 exec, exec, s[34:35]
	v_cmp_ne_u32_e32 vcc, 0, v0
	s_and_saveexec_b64 s[34:35], vcc
	s_cbranch_execz .LBB12_893
.LBB12_890:                             ;   in Loop: Header=BB12_79 Depth=1
	s_and_saveexec_b64 vcc, s[18:19]
	s_cbranch_execz .LBB12_892
; %bb.891:                              ;   in Loop: Header=BB12_79 Depth=1
	flat_store_dword v[44:45], v47
.LBB12_892:                             ;   in Loop: Header=BB12_79 Depth=1
	s_or_b64 exec, exec, vcc
	v_add_co_u32_e32 v8, vcc, 1, v8
	v_addc_co_u32_e32 v9, vcc, 0, v9, vcc
	flat_store_dwordx2 v[22:23], v[8:9]
.LBB12_893:                             ;   in Loop: Header=BB12_79 Depth=1
	s_or_b64 exec, exec, s[34:35]
	v_mov_b32_e32 v1, v42
.LBB12_894:                             ;   in Loop: Header=BB12_79 Depth=1
	s_or_b64 exec, exec, s[42:43]
	s_mov_b64 vcc, s[38:39]
	s_mov_b64 s[42:43], s[36:37]
	s_and_saveexec_b64 s[34:35], s[30:31]
	s_cbranch_execz .LBB12_981
; %bb.895:                              ;   in Loop: Header=BB12_79 Depth=1
	v_and_b32_e32 v0, 8, v46
	v_cmp_ne_u32_e32 vcc, 0, v0
	s_mov_b64 s[42:43], -1
	s_and_saveexec_b64 s[30:31], vcc
	s_cbranch_execz .LBB12_907
; %bb.896:                              ;   in Loop: Header=BB12_79 Depth=1
	v_add_co_u32_e32 v10, vcc, 8, v34
	v_addc_co_u32_e32 v11, vcc, 0, v35, vcc
	v_add_co_u32_e32 v2, vcc, 1, v8
	v_addc_co_u32_e32 v3, vcc, 0, v9, vcc
	v_cmp_lt_u64_e32 vcc, v[10:11], v[2:3]
	v_mov_b32_e32 v0, 1
	s_and_saveexec_b64 s[42:43], vcc
	s_cbranch_execz .LBB12_906
; %bb.897:                              ;   in Loop: Header=BB12_79 Depth=1
	s_mov_b64 s[62:63], 0
	v_mov_b32_e32 v0, 0
                                        ; implicit-def: $sgpr64_sgpr65
	s_branch .LBB12_901
.LBB12_898:                             ;   in Loop: Header=BB12_901 Depth=2
	s_or_b64 exec, exec, s[72:73]
	v_mov_b32_e32 v10, 0
	s_orn2_b64 s[70:71], s[70:71], exec
.LBB12_899:                             ;   in Loop: Header=BB12_901 Depth=2
	s_or_b64 exec, exec, s[68:69]
	s_andn2_b64 vcc, s[64:65], exec
	s_and_b64 s[64:65], s[70:71], exec
	s_or_b64 s[64:65], vcc, s[64:65]
	v_mov_b32_e32 v0, v10
.LBB12_900:                             ;   in Loop: Header=BB12_901 Depth=2
	s_or_b64 exec, exec, s[66:67]
	s_waitcnt vmcnt(0) lgkmcnt(0)
	v_add_co_u32_e32 v10, vcc, 8, v34
	v_addc_co_u32_e32 v11, vcc, 0, v35, vcc
	v_cmp_ge_u64_e32 vcc, v[10:11], v[2:3]
	s_xor_b64 s[66:67], s[64:65], -1
	s_or_b64 vcc, s[66:67], vcc
	s_and_b64 vcc, exec, vcc
	s_or_b64 s[62:63], vcc, s[62:63]
	s_andn2_b64 exec, exec, s[62:63]
	s_cbranch_execz .LBB12_905
.LBB12_901:                             ;   Parent Loop BB12_79 Depth=1
                                        ; =>  This Inner Loop Header: Depth=2
	s_sleep 1
	flat_load_dwordx2 v[34:35], v[22:23] glc
	v_and_b32_e32 v4, 64, v46
	v_cmp_eq_u32_e32 vcc, 0, v4
	s_andn2_b64 s[64:65], s[64:65], exec
	s_and_saveexec_b64 s[66:67], vcc
	s_cbranch_execz .LBB12_900
; %bb.902:                              ;   in Loop: Header=BB12_901 Depth=2
	v_add_u32_e32 v10, 1, v0
	v_cmp_lt_i32_e32 vcc, s82, v0
	s_mov_b64 s[70:71], -1
	s_and_saveexec_b64 s[68:69], vcc
	s_cbranch_execz .LBB12_899
; %bb.903:                              ;   in Loop: Header=BB12_901 Depth=2
	s_trap 2
	ds_read_b64 v[10:11], v0
	s_waitcnt vmcnt(0) lgkmcnt(0)
	flat_load_dword v0, v[10:11] glc
	s_waitcnt vmcnt(0) lgkmcnt(0)
	buffer_invl2
	buffer_wbinvl1_vol
	v_cmp_ne_u32_e32 vcc, 0, v0
	s_and_saveexec_b64 s[72:73], vcc
	s_cbranch_execz .LBB12_898
; %bb.904:                              ;   in Loop: Header=BB12_901 Depth=2
	v_or_b32_e32 v46, 64, v46
	s_xor_b64 s[70:71], exec, -1
	ds_write_b32 v0, v0
	s_trap 2
	s_branch .LBB12_898
.LBB12_905:                             ;   in Loop: Header=BB12_79 Depth=1
	s_or_b64 exec, exec, s[62:63]
	v_and_b32_e32 v0, 8, v46
.LBB12_906:                             ;   in Loop: Header=BB12_79 Depth=1
	s_or_b64 exec, exec, s[42:43]
	v_cmp_eq_u32_e32 vcc, 0, v0
	s_orn2_b64 s[42:43], vcc, exec
	;;#ASMSTART
	s_wakeup
	;;#ASMEND
.LBB12_907:                             ;   in Loop: Header=BB12_79 Depth=1
	s_or_b64 exec, exec, s[30:31]
	v_sub_u32_e32 v0, v14, v1
	s_xor_b64 vcc, s[42:43], -1
	v_min_i32_e32 v2, v42, v0
	s_and_saveexec_b64 s[42:43], vcc
	s_cbranch_execz .LBB12_929
; %bb.908:                              ;   in Loop: Header=BB12_79 Depth=1
	v_and_b32_e32 v0, 0x100, v46
	v_cmp_ne_u32_e32 vcc, 0, v0
	v_and_b32_e32 v0, 7, v8
	s_mov_b64 s[30:31], -1
                                        ; implicit-def: $vgpr12_vgpr13
	s_and_saveexec_b64 s[62:63], vcc
	s_cbranch_execz .LBB12_912
; %bb.909:                              ;   in Loop: Header=BB12_79 Depth=1
	v_mad_u64_u32 v[14:15], vcc, v0, 24, v[6:7]
	flat_load_dword v1, v[14:15]
	v_ashrrev_i32_e32 v3, 31, v2
	flat_store_dwordx2 v[14:15], v[2:3] offset:8
                                        ; implicit-def: $vgpr12_vgpr13
	s_waitcnt vmcnt(0) lgkmcnt(0)
	v_cmp_ne_u32_e32 vcc, 1, v1
	v_cmp_eq_u32_e64 s[30:31], 1, v1
	s_and_saveexec_b64 s[64:65], s[30:31]
	s_cbranch_execz .LBB12_911
; %bb.910:                              ;   in Loop: Header=BB12_79 Depth=1
	flat_load_dword v12, v[14:15] offset:4 glc
	s_waitcnt vmcnt(0) lgkmcnt(0)
	v_ashrrev_i32_e32 v13, 31, v12
.LBB12_911:                             ;   in Loop: Header=BB12_79 Depth=1
	s_or_b64 exec, exec, s[64:65]
	s_orn2_b64 s[30:31], vcc, exec
.LBB12_912:                             ;   in Loop: Header=BB12_79 Depth=1
	s_or_b64 exec, exec, s[62:63]
	s_and_saveexec_b64 vcc, s[30:31]
; %bb.913:                              ;   in Loop: Header=BB12_79 Depth=1
	v_mad_i64_i32 v[12:13], s[30:31], v0, v30, 0
; %bb.914:                              ;   in Loop: Header=BB12_79 Depth=1
	s_or_b64 exec, exec, vcc
	v_add_co_u32_e32 v0, vcc, v56, v12
	v_addc_co_u32_e32 v1, vcc, v57, v13, vcc
	ds_write_b64 v0, v[0:1] offset:784
	v_and_b32_e32 v0, 0x2000, v46
	v_cmp_ne_u32_e32 vcc, 0, v0
	s_and_saveexec_b64 s[30:31], vcc
	s_cbranch_execz .LBB12_916
; %bb.915:                              ;   in Loop: Header=BB12_79 Depth=1
	ds_read_b64 v[0:1], v0 offset:584
	s_waitcnt lgkmcnt(0)
	v_add_co_u32_e32 v0, vcc, 1, v0
	v_addc_co_u32_e32 v1, vcc, 0, v1, vcc
	ds_write_b64 v0, v[0:1] offset:584
.LBB12_916:                             ;   in Loop: Header=BB12_79 Depth=1
	s_or_b64 exec, exec, s[30:31]
	v_add_co_u32_e32 v8, vcc, 1, v8
	v_addc_co_u32_e32 v9, vcc, 0, v9, vcc
	s_or_b64 exec, exec, s[42:43]
	s_and_saveexec_b64 s[30:31], s[14:15]
	s_cbranch_execnz .LBB12_930
.LBB12_917:                             ;   in Loop: Header=BB12_79 Depth=1
	s_or_b64 exec, exec, s[30:31]
                                        ; implicit-def: $vgpr0
	s_and_saveexec_b64 vcc, s[56:57]
	s_xor_b64 s[30:31], exec, vcc
	s_cbranch_execz .LBB12_974
.LBB12_918:                             ;   in Loop: Header=BB12_79 Depth=1
	s_and_saveexec_b64 vcc, s[52:53]
	s_xor_b64 s[42:43], exec, vcc
	s_cbranch_execz .LBB12_964
; %bb.919:                              ;   in Loop: Header=BB12_79 Depth=1
	s_and_saveexec_b64 s[62:63], s[20:21]
	s_cbranch_execz .LBB12_963
; %bb.920:                              ;   in Loop: Header=BB12_79 Depth=1
	s_mov_b64 s[66:67], exec
	v_mbcnt_lo_u32_b32 v0, s66, 0
	v_mbcnt_hi_u32_b32 v0, s67, v0
	v_cmp_eq_u32_e32 vcc, 0, v0
	;;#ASMSTART
	s_waitcnt lgkmcnt(0) vmcnt(0)
	;;#ASMEND
	s_and_saveexec_b64 s[64:65], vcc
	s_cbranch_execz .LBB12_922
; %bb.921:                              ;   in Loop: Header=BB12_79 Depth=1
	s_bcnt1_i32_b64 vcc_lo, s[66:67]
	v_mov_b32_e32 v0, vcc_lo
	v_mov_b32_e32 v1, v16
	ds_add_u64 v0, v[0:1]
	s_trap 2
.LBB12_922:                             ;   in Loop: Header=BB12_79 Depth=1
	s_or_b64 exec, exec, s[64:65]
	s_trap 2
	ds_read_b64 v[0:1], v0
	v_add_co_u32_e32 v32, vcc, v32, v36
	v_addc_co_u32_e32 v33, vcc, 0, v33, vcc
	s_waitcnt lgkmcnt(0)
	v_cmp_lt_u64_e32 vcc, v[0:1], v[32:33]
	s_and_saveexec_b64 s[64:65], vcc
	s_cbranch_execz .LBB12_962
; %bb.923:                              ;   in Loop: Header=BB12_79 Depth=1
	s_mov_b32 s76, 0
	s_mov_b64 s[66:67], 0
                                        ; implicit-def: $sgpr68_sgpr69
                                        ; implicit-def: $sgpr70_sgpr71
	s_branch .LBB12_925
.LBB12_924:                             ;   in Loop: Header=BB12_925 Depth=2
	s_or_b64 exec, exec, s[74:75]
	s_and_b64 vcc, exec, vcc
	s_or_b64 s[66:67], vcc, s[66:67]
	s_andn2_b64 vcc, s[68:69], exec
	s_and_b64 s[68:69], s[70:71], exec
	s_or_b64 s[68:69], vcc, s[68:69]
	s_andn2_b64 exec, exec, s[66:67]
	s_cbranch_execz .LBB12_960
.LBB12_925:                             ;   Parent Loop BB12_79 Depth=1
                                        ; =>  This Inner Loop Header: Depth=2
	s_add_i32 s76, s76, 1
	s_cmpk_lg_i32 s76, 0x2710
	s_cselect_b64 s[72:73], -1, 0
	s_and_b64 vcc, exec, s[72:73]
                                        ; implicit-def: $sgpr74_sgpr75
	s_cbranch_vccnz .LBB12_927
; %bb.926:                              ;   in Loop: Header=BB12_925 Depth=2
	s_trap 2
	ds_read_b64 v[0:1], v0
	s_andn2_b64 s[72:73], s[72:73], exec
	s_mov_b32 s76, 0
	s_mov_b64 s[74:75], -1
	s_waitcnt vmcnt(0) lgkmcnt(0)
	flat_load_dword v0, v[0:1] glc
	s_waitcnt vmcnt(0) lgkmcnt(0)
	buffer_invl2
	buffer_wbinvl1_vol
	v_cmp_eq_u32_e32 vcc, 0, v0
	s_and_b64 vcc, vcc, exec
	s_or_b64 s[72:73], s[72:73], vcc
.LBB12_927:                             ;   in Loop: Header=BB12_925 Depth=2
	s_andn2_b64 s[70:71], s[70:71], exec
	s_and_b64 s[74:75], s[74:75], exec
	s_mov_b64 vcc, -1
	s_or_b64 s[70:71], s[70:71], s[74:75]
	s_and_saveexec_b64 s[74:75], s[72:73]
	s_cbranch_execz .LBB12_924
; %bb.928:                              ;   in Loop: Header=BB12_925 Depth=2
	s_sleep 1
	s_trap 2
	ds_read_b64 v[0:1], v0
	s_andn2_b64 s[70:71], s[70:71], exec
	s_waitcnt lgkmcnt(0)
	v_cmp_ge_u64_e32 vcc, v[0:1], v[32:33]
	s_orn2_b64 vcc, vcc, exec
	s_branch .LBB12_924
.LBB12_929:                             ;   in Loop: Header=BB12_79 Depth=1
	s_or_b64 exec, exec, s[42:43]
	s_and_saveexec_b64 s[30:31], s[14:15]
	s_cbranch_execz .LBB12_917
.LBB12_930:                             ;   in Loop: Header=BB12_79 Depth=1
	s_and_saveexec_b64 vcc, s[52:53]
	s_xor_b64 s[42:43], exec, vcc
	s_cbranch_execz .LBB12_971
; %bb.931:                              ;   in Loop: Header=BB12_79 Depth=1
	s_and_saveexec_b64 s[62:63], s[20:21]
	s_cbranch_execz .LBB12_970
; %bb.932:                              ;   in Loop: Header=BB12_79 Depth=1
	s_mov_b64 s[66:67], exec
	v_mbcnt_lo_u32_b32 v0, s66, 0
	v_mbcnt_hi_u32_b32 v0, s67, v0
	v_cmp_eq_u32_e32 vcc, 0, v0
	s_waitcnt vmcnt(0) lgkmcnt(0)
	buffer_wbinvl1_vol
	s_and_saveexec_b64 s[64:65], vcc
	s_cbranch_execz .LBB12_934
; %bb.933:                              ;   in Loop: Header=BB12_79 Depth=1
	s_bcnt1_i32_b64 vcc_lo, s[66:67]
	v_mov_b32_e32 v0, vcc_lo
	v_mov_b32_e32 v1, v16
	ds_add_u64 v0, v[0:1]
	s_trap 2
.LBB12_934:                             ;   in Loop: Header=BB12_79 Depth=1
	s_or_b64 exec, exec, s[64:65]
	s_trap 2
	ds_read_b64 v[0:1], v0
	v_add_co_u32_e32 v32, vcc, v32, v36
	v_addc_co_u32_e32 v33, vcc, 0, v33, vcc
	s_waitcnt lgkmcnt(0)
	v_cmp_lt_u64_e32 vcc, v[0:1], v[32:33]
	s_and_saveexec_b64 s[64:65], vcc
	s_cbranch_execz .LBB12_969
; %bb.935:                              ;   in Loop: Header=BB12_79 Depth=1
	s_mov_b32 s76, 0
	s_mov_b64 s[66:67], 0
                                        ; implicit-def: $sgpr68_sgpr69
                                        ; implicit-def: $sgpr70_sgpr71
	s_branch .LBB12_937
.LBB12_936:                             ;   in Loop: Header=BB12_937 Depth=2
	s_or_b64 exec, exec, s[74:75]
	s_and_b64 vcc, exec, vcc
	s_or_b64 s[66:67], vcc, s[66:67]
	s_andn2_b64 vcc, s[68:69], exec
	s_and_b64 s[68:69], s[70:71], exec
	s_or_b64 s[68:69], vcc, s[68:69]
	s_andn2_b64 exec, exec, s[66:67]
	s_cbranch_execz .LBB12_967
.LBB12_937:                             ;   Parent Loop BB12_79 Depth=1
                                        ; =>  This Inner Loop Header: Depth=2
	s_add_i32 s76, s76, 1
	s_cmpk_lg_i32 s76, 0x2710
	s_cselect_b64 s[72:73], -1, 0
	s_and_b64 vcc, exec, s[72:73]
                                        ; implicit-def: $sgpr74_sgpr75
	s_cbranch_vccnz .LBB12_939
; %bb.938:                              ;   in Loop: Header=BB12_937 Depth=2
	s_trap 2
	ds_read_b64 v[0:1], v0
	s_andn2_b64 s[72:73], s[72:73], exec
	s_mov_b32 s76, 0
	s_mov_b64 s[74:75], -1
	s_waitcnt lgkmcnt(0)
	flat_load_dword v0, v[0:1] glc
	s_waitcnt vmcnt(0) lgkmcnt(0)
	buffer_invl2
	buffer_wbinvl1_vol
	v_cmp_eq_u32_e32 vcc, 0, v0
	s_and_b64 vcc, vcc, exec
	s_or_b64 s[72:73], s[72:73], vcc
.LBB12_939:                             ;   in Loop: Header=BB12_937 Depth=2
	s_andn2_b64 s[70:71], s[70:71], exec
	s_and_b64 s[74:75], s[74:75], exec
	s_mov_b64 vcc, -1
	s_or_b64 s[70:71], s[70:71], s[74:75]
	s_and_saveexec_b64 s[74:75], s[72:73]
	s_cbranch_execz .LBB12_936
; %bb.940:                              ;   in Loop: Header=BB12_937 Depth=2
	s_sleep 1
	s_trap 2
	ds_read_b64 v[0:1], v0
	s_andn2_b64 s[70:71], s[70:71], exec
	s_waitcnt lgkmcnt(0)
	v_cmp_ge_u64_e32 vcc, v[0:1], v[32:33]
	s_orn2_b64 vcc, vcc, exec
	s_branch .LBB12_936
.LBB12_941:                             ;   in Loop: Header=BB12_79 Depth=1
	s_or_b64 exec, exec, s[66:67]
	s_and_saveexec_b64 vcc, s[68:69]
	s_xor_b64 vcc, exec, vcc
	s_cbranch_execz .LBB12_943
; %bb.942:                              ;   in Loop: Header=BB12_79 Depth=1
	ds_write_b32 v0, v47
	s_trap 2
.LBB12_943:                             ;   in Loop: Header=BB12_79 Depth=1
	s_or_b64 exec, exec, s[64:65]
	;;#ASMSTART
	s_wakeup
	;;#ASMEND
.LBB12_944:                             ;   in Loop: Header=BB12_79 Depth=1
	s_or_b64 exec, exec, s[62:63]
.LBB12_945:                             ;   in Loop: Header=BB12_79 Depth=1
	s_andn2_saveexec_b64 vcc, s[58:59]
	s_cbranch_execz .LBB12_947
; %bb.946:                              ;   in Loop: Header=BB12_79 Depth=1
	s_waitcnt vmcnt(0) lgkmcnt(0)
	buffer_wbinvl1_vol
	s_barrier
.LBB12_947:                             ;   in Loop: Header=BB12_79 Depth=1
	s_or_b64 exec, exec, vcc
	s_or_b64 exec, exec, s[36:37]
	s_and_saveexec_b64 vcc, s[28:29]
	s_xor_b64 s[36:37], exec, vcc
	s_cbranch_execnz .LBB12_866
.LBB12_948:                             ;   in Loop: Header=BB12_79 Depth=1
	s_andn2_saveexec_b64 s[36:37], s[36:37]
	s_cbranch_execz .LBB12_992
.LBB12_949:                             ;   in Loop: Header=BB12_79 Depth=1
	s_and_saveexec_b64 vcc, s[52:53]
	s_xor_b64 s[58:59], exec, vcc
	s_cbranch_execz .LBB12_989
; %bb.950:                              ;   in Loop: Header=BB12_79 Depth=1
	s_and_saveexec_b64 s[62:63], s[20:21]
	s_cbranch_execz .LBB12_988
; %bb.951:                              ;   in Loop: Header=BB12_79 Depth=1
	s_mov_b64 s[66:67], exec
	v_mbcnt_lo_u32_b32 v0, s66, 0
	v_mbcnt_hi_u32_b32 v0, s67, v0
	v_cmp_eq_u32_e32 vcc, 0, v0
	;;#ASMSTART
	s_waitcnt lgkmcnt(0) vmcnt(0)
	;;#ASMEND
	s_and_saveexec_b64 s[64:65], vcc
	s_cbranch_execz .LBB12_953
; %bb.952:                              ;   in Loop: Header=BB12_79 Depth=1
	s_bcnt1_i32_b64 vcc_lo, s[66:67]
	v_mov_b32_e32 v0, vcc_lo
	v_mov_b32_e32 v1, v16
	ds_add_u64 v0, v[0:1]
	s_trap 2
.LBB12_953:                             ;   in Loop: Header=BB12_79 Depth=1
	s_or_b64 exec, exec, s[64:65]
	s_trap 2
	ds_read_b64 v[0:1], v0
	v_add_co_u32_e32 v32, vcc, v32, v36
	v_addc_co_u32_e32 v33, vcc, 0, v33, vcc
	s_waitcnt lgkmcnt(0)
	v_cmp_lt_u64_e32 vcc, v[0:1], v[32:33]
	s_and_saveexec_b64 s[64:65], vcc
	s_cbranch_execz .LBB12_987
; %bb.954:                              ;   in Loop: Header=BB12_79 Depth=1
	s_mov_b32 s76, 0
	s_mov_b64 s[66:67], 0
                                        ; implicit-def: $sgpr68_sgpr69
                                        ; implicit-def: $sgpr70_sgpr71
	s_branch .LBB12_956
.LBB12_955:                             ;   in Loop: Header=BB12_956 Depth=2
	s_or_b64 exec, exec, s[74:75]
	s_and_b64 vcc, exec, vcc
	s_or_b64 s[66:67], vcc, s[66:67]
	s_andn2_b64 vcc, s[68:69], exec
	s_and_b64 s[68:69], s[70:71], exec
	s_or_b64 s[68:69], vcc, s[68:69]
	s_andn2_b64 exec, exec, s[66:67]
	s_cbranch_execz .LBB12_985
.LBB12_956:                             ;   Parent Loop BB12_79 Depth=1
                                        ; =>  This Inner Loop Header: Depth=2
	s_add_i32 s76, s76, 1
	s_cmpk_lg_i32 s76, 0x2710
	s_cselect_b64 s[72:73], -1, 0
	s_and_b64 vcc, exec, s[72:73]
                                        ; implicit-def: $sgpr74_sgpr75
	s_cbranch_vccnz .LBB12_958
; %bb.957:                              ;   in Loop: Header=BB12_956 Depth=2
	s_trap 2
	ds_read_b64 v[0:1], v0
	s_andn2_b64 s[72:73], s[72:73], exec
	s_mov_b32 s76, 0
	s_mov_b64 s[74:75], -1
	s_waitcnt vmcnt(0) lgkmcnt(0)
	flat_load_dword v0, v[0:1] glc
	s_waitcnt vmcnt(0) lgkmcnt(0)
	buffer_invl2
	buffer_wbinvl1_vol
	v_cmp_eq_u32_e32 vcc, 0, v0
	s_and_b64 vcc, vcc, exec
	s_or_b64 s[72:73], s[72:73], vcc
.LBB12_958:                             ;   in Loop: Header=BB12_956 Depth=2
	s_andn2_b64 s[70:71], s[70:71], exec
	s_and_b64 s[74:75], s[74:75], exec
	s_mov_b64 vcc, -1
	s_or_b64 s[70:71], s[70:71], s[74:75]
	s_and_saveexec_b64 s[74:75], s[72:73]
	s_cbranch_execz .LBB12_955
; %bb.959:                              ;   in Loop: Header=BB12_956 Depth=2
	s_sleep 1
	s_trap 2
	ds_read_b64 v[0:1], v0
	s_andn2_b64 s[70:71], s[70:71], exec
	s_waitcnt lgkmcnt(0)
	v_cmp_ge_u64_e32 vcc, v[0:1], v[32:33]
	s_orn2_b64 vcc, vcc, exec
	s_branch .LBB12_955
.LBB12_960:                             ;   in Loop: Header=BB12_79 Depth=1
	s_or_b64 exec, exec, s[66:67]
	s_and_saveexec_b64 vcc, s[68:69]
	s_xor_b64 vcc, exec, vcc
	s_cbranch_execz .LBB12_962
; %bb.961:                              ;   in Loop: Header=BB12_79 Depth=1
	ds_write_b32 v0, v47
	s_trap 2
.LBB12_962:                             ;   in Loop: Header=BB12_79 Depth=1
	s_or_b64 exec, exec, s[64:65]
	;;#ASMSTART
	s_wakeup
	;;#ASMEND
.LBB12_963:                             ;   in Loop: Header=BB12_79 Depth=1
	s_or_b64 exec, exec, s[62:63]
.LBB12_964:                             ;   in Loop: Header=BB12_79 Depth=1
	s_andn2_saveexec_b64 vcc, s[42:43]
	s_cbranch_execz .LBB12_966
; %bb.965:                              ;   in Loop: Header=BB12_79 Depth=1
	;;#ASMSTART
	s_waitcnt lgkmcnt(0) vmcnt(0)
	;;#ASMEND
	s_barrier
.LBB12_966:                             ;   in Loop: Header=BB12_79 Depth=1
	s_or_b64 exec, exec, vcc
	v_and_b32_e32 v0, 16, v46
                                        ; implicit-def: $vgpr2
	s_andn2_saveexec_b64 s[30:31], s[30:31]
	s_cbranch_execz .LBB12_978
	s_branch .LBB12_975
.LBB12_967:                             ;   in Loop: Header=BB12_79 Depth=1
	s_or_b64 exec, exec, s[66:67]
	s_and_saveexec_b64 vcc, s[68:69]
	s_xor_b64 vcc, exec, vcc
	s_cbranch_execz .LBB12_969
; %bb.968:                              ;   in Loop: Header=BB12_79 Depth=1
	ds_write_b32 v0, v47
	s_trap 2
.LBB12_969:                             ;   in Loop: Header=BB12_79 Depth=1
	s_or_b64 exec, exec, s[64:65]
	;;#ASMSTART
	s_wakeup
	;;#ASMEND
.LBB12_970:                             ;   in Loop: Header=BB12_79 Depth=1
	s_or_b64 exec, exec, s[62:63]
.LBB12_971:                             ;   in Loop: Header=BB12_79 Depth=1
	s_andn2_saveexec_b64 vcc, s[42:43]
	s_cbranch_execz .LBB12_973
; %bb.972:                              ;   in Loop: Header=BB12_79 Depth=1
	s_waitcnt vmcnt(0) lgkmcnt(0)
	buffer_wbinvl1_vol
	s_barrier
.LBB12_973:                             ;   in Loop: Header=BB12_79 Depth=1
	s_or_b64 exec, exec, vcc
	s_or_b64 exec, exec, s[30:31]
                                        ; implicit-def: $vgpr0
	s_and_saveexec_b64 vcc, s[56:57]
	s_xor_b64 s[30:31], exec, vcc
	s_cbranch_execnz .LBB12_918
.LBB12_974:                             ;   in Loop: Header=BB12_79 Depth=1
	s_andn2_saveexec_b64 s[30:31], s[30:31]
	s_cbranch_execz .LBB12_978
.LBB12_975:                             ;   in Loop: Header=BB12_79 Depth=1
	s_trap 2
	ds_read_b32 v1, v0
	v_cmp_lt_i32_e32 vcc, 0, v2
	v_and_b32_e32 v2, 16, v46
	v_and_b32_e32 v0, 16, v46
	s_waitcnt lgkmcnt(0)
	v_readfirstlane_b32 s42, v1
	s_cmp_eq_u32 s42, 0
	s_cselect_b64 s[42:43], -1, 0
	s_and_b64 s[42:43], vcc, s[42:43]
	v_cmp_ne_u32_e32 vcc, 0, v2
	s_and_b64 s[42:43], vcc, s[42:43]
	s_and_saveexec_b64 vcc, s[42:43]
	s_cbranch_execz .LBB12_977
; %bb.976:                              ;   in Loop: Header=BB12_79 Depth=1
	v_mov_b32_e32 v0, 1
	s_waitcnt vmcnt(0)
	buffer_wbinvl1_vol
.LBB12_977:                             ;   in Loop: Header=BB12_79 Depth=1
	s_or_b64 exec, exec, vcc
.LBB12_978:                             ;   in Loop: Header=BB12_79 Depth=1
	s_or_b64 exec, exec, s[30:31]
	v_cmp_ne_u32_e32 vcc, 0, v0
	s_mov_b64 s[30:31], s[38:39]
	s_mov_b64 s[42:43], s[36:37]
	s_and_saveexec_b64 s[62:63], vcc
; %bb.979:                              ;   in Loop: Header=BB12_79 Depth=1
	s_andn2_b64 vcc, s[36:37], exec
	s_and_b64 s[30:31], s[16:17], exec
	s_or_b64 s[42:43], vcc, s[30:31]
	s_andn2_b64 vcc, s[38:39], exec
	s_and_b64 s[30:31], s[18:19], exec
	s_or_b64 s[30:31], vcc, s[30:31]
; %bb.980:                              ;   in Loop: Header=BB12_79 Depth=1
	s_or_b64 exec, exec, s[62:63]
	s_andn2_b64 vcc, s[36:37], exec
	s_and_b64 s[42:43], s[42:43], exec
	s_or_b64 s[42:43], vcc, s[42:43]
	s_andn2_b64 vcc, s[38:39], exec
	s_and_b64 s[30:31], s[30:31], exec
	s_or_b64 vcc, vcc, s[30:31]
.LBB12_981:                             ;   in Loop: Header=BB12_79 Depth=1
	s_or_b64 exec, exec, s[34:35]
	s_andn2_b64 s[30:31], s[36:37], exec
	s_and_b64 s[34:35], s[42:43], exec
	s_or_b64 s[36:37], s[30:31], s[34:35]
	s_andn2_b64 s[30:31], s[38:39], exec
	s_and_b64 vcc, vcc, exec
	s_or_b64 s[38:39], s[30:31], vcc
.LBB12_982:                             ;   in Loop: Header=BB12_79 Depth=1
	s_or_b64 exec, exec, s[40:41]
	s_and_saveexec_b64 vcc, s[38:39]
	s_cbranch_execz .LBB12_984
; %bb.983:                              ;   in Loop: Header=BB12_79 Depth=1
	s_or_b64 s[36:37], s[36:37], exec
	flat_store_dword v[44:45], v47
.LBB12_984:                             ;   in Loop: Header=BB12_79 Depth=1
	s_or_b64 exec, exec, vcc
	s_andn2_b64 vcc, s[58:59], exec
	s_and_b64 s[30:31], s[36:37], exec
	s_or_b64 s[58:59], vcc, s[30:31]
	s_or_b64 exec, exec, s[60:61]
	s_and_saveexec_b64 s[30:31], s[58:59]
	s_cbranch_execz .LBB12_78
	s_branch .LBB12_996
.LBB12_985:                             ;   in Loop: Header=BB12_79 Depth=1
	s_or_b64 exec, exec, s[66:67]
	s_and_saveexec_b64 vcc, s[68:69]
	s_xor_b64 vcc, exec, vcc
	s_cbranch_execz .LBB12_987
; %bb.986:                              ;   in Loop: Header=BB12_79 Depth=1
	ds_write_b32 v0, v47
	s_trap 2
.LBB12_987:                             ;   in Loop: Header=BB12_79 Depth=1
	s_or_b64 exec, exec, s[64:65]
	;;#ASMSTART
	s_wakeup
	;;#ASMEND
.LBB12_988:                             ;   in Loop: Header=BB12_79 Depth=1
	s_or_b64 exec, exec, s[62:63]
.LBB12_989:                             ;   in Loop: Header=BB12_79 Depth=1
	s_andn2_saveexec_b64 vcc, s[58:59]
	s_cbranch_execz .LBB12_991
; %bb.990:                              ;   in Loop: Header=BB12_79 Depth=1
	;;#ASMSTART
	s_waitcnt lgkmcnt(0) vmcnt(0)
	;;#ASMEND
	s_barrier
.LBB12_991:                             ;   in Loop: Header=BB12_79 Depth=1
	s_or_b64 exec, exec, vcc
.LBB12_992:                             ;   in Loop: Header=BB12_79 Depth=1
	s_or_b64 exec, exec, s[36:37]
	v_and_b32_e32 v0, 32, v46
	v_cmp_ne_u32_e32 vcc, 0, v0
	s_andn2_b64 s[36:37], s[38:39], exec
	s_and_b64 vcc, vcc, exec
	s_or_b64 vcc, s[36:37], vcc
.LBB12_993:                             ;   in Loop: Header=BB12_79 Depth=1
	s_or_b64 exec, exec, s[42:43]
	s_andn2_b64 s[36:37], s[38:39], exec
	s_and_b64 vcc, vcc, exec
	s_or_b64 s[38:39], s[36:37], vcc
.LBB12_994:                             ;   in Loop: Header=BB12_79 Depth=1
	s_or_b64 exec, exec, s[40:41]
	s_and_b64 s[58:59], s[38:39], exec
                                        ; implicit-def: $vgpr42
                                        ; implicit-def: $vgpr14
                                        ; implicit-def: $vgpr2
                                        ; implicit-def: $vgpr3
	s_andn2_saveexec_b64 s[60:61], s[60:61]
	s_cbranch_execnz .LBB12_88
.LBB12_995:                             ;   in Loop: Header=BB12_79 Depth=1
	s_or_b64 exec, exec, s[60:61]
	s_and_saveexec_b64 s[30:31], s[58:59]
	s_cbranch_execz .LBB12_78
.LBB12_996:                             ;   in Loop: Header=BB12_79 Depth=1
	v_add_co_u32_e32 v8, vcc, 1, v8
	v_addc_co_u32_e32 v9, vcc, 0, v9, vcc
	flat_store_dwordx2 v[22:23], v[8:9]
	s_branch .LBB12_78
.LBB12_997:
	s_or_b64 exec, exec, s[50:51]
	v_accvgpr_read_b32 v49, a11
	v_accvgpr_read_b32 v17, a5
	v_accvgpr_read_b32 v16, a7
	v_accvgpr_read_b32 v48, a10
.LBB12_998:
	s_or_b64 exec, exec, s[48:49]
	v_and_b32_e32 v0, 0x800, v46
	v_cmp_eq_u32_e32 vcc, 0, v0
	s_and_saveexec_b64 s[4:5], vcc
	s_cbranch_execz .LBB12_1033
; %bb.999:
	v_and_b32_e32 v0, 48, v46
	v_cmp_ne_u32_e32 vcc, 0, v0
	s_and_saveexec_b64 s[6:7], vcc
	s_cbranch_execz .LBB12_1001
; %bb.1000:
	s_waitcnt lgkmcnt(0)
	flat_store_dwordx2 v[48:49], v[8:9] offset:104
.LBB12_1001:
	s_or_b64 exec, exec, s[6:7]
	s_movk_i32 s6, 0x88
	v_and_b32_e32 v0, 0x88, v46
	v_cmp_eq_u32_e32 vcc, s6, v0
	s_and_saveexec_b64 s[6:7], vcc
	s_cbranch_execz .LBB12_1013
; %bb.1002:
	s_waitcnt lgkmcnt(0)
	v_add_u32_e32 v0, -1, v8
	v_and_b32_e32 v0, 7, v0
	v_mad_u64_u32 v[0:1], s[10:11], v0, 24, v[6:7]
	v_add_co_u32_e32 v0, vcc, 8, v0
	v_addc_co_u32_e32 v1, vcc, 0, v1, vcc
	s_mov_b64 s[10:11], 0
	v_mov_b32_e32 v2, 0
	s_movk_i32 s24, 0x270e
                                        ; implicit-def: $sgpr12_sgpr13
	s_branch .LBB12_1007
.LBB12_1003:                            ;   in Loop: Header=BB12_1007 Depth=1
	s_or_b64 exec, exec, s[22:23]
	v_mov_b32_e32 v3, 0
	s_orn2_b64 s[20:21], s[20:21], exec
.LBB12_1004:                            ;   in Loop: Header=BB12_1007 Depth=1
	s_or_b64 exec, exec, s[18:19]
	s_and_b64 s[18:19], s[20:21], exec
	v_mov_b32_e32 v2, v3
.LBB12_1005:                            ;   in Loop: Header=BB12_1007 Depth=1
	s_or_b64 exec, exec, s[16:17]
	s_xor_b64 s[16:17], s[18:19], -1
	s_andn2_b64 s[12:13], s[12:13], exec
	s_and_b64 s[16:17], s[16:17], exec
	s_or_b64 s[12:13], s[12:13], s[16:17]
.LBB12_1006:                            ;   in Loop: Header=BB12_1007 Depth=1
	s_or_b64 exec, exec, s[14:15]
	s_and_b64 s[14:15], exec, s[12:13]
	s_or_b64 s[10:11], s[14:15], s[10:11]
	s_andn2_b64 exec, exec, s[10:11]
	s_cbranch_execz .LBB12_1012
.LBB12_1007:                            ; =>This Inner Loop Header: Depth=1
	flat_load_dwordx2 v[4:5], v[0:1] glc
	s_waitcnt vmcnt(0)
	s_or_b64 s[12:13], s[12:13], exec
	s_waitcnt lgkmcnt(0)
	v_cmp_ne_u64_e32 vcc, -1, v[4:5]
	s_and_saveexec_b64 s[14:15], vcc
	s_cbranch_execz .LBB12_1006
; %bb.1008:                             ;   in Loop: Header=BB12_1007 Depth=1
	v_and_b32_e32 v3, 64, v46
	v_cmp_eq_u32_e32 vcc, 0, v3
	s_mov_b64 s[18:19], 0
	s_and_saveexec_b64 s[16:17], vcc
	s_cbranch_execz .LBB12_1005
; %bb.1009:                             ;   in Loop: Header=BB12_1007 Depth=1
	v_add_u32_e32 v3, 1, v2
	v_cmp_lt_i32_e32 vcc, s24, v2
	s_mov_b64 s[20:21], -1
	s_and_saveexec_b64 s[18:19], vcc
	s_cbranch_execz .LBB12_1004
; %bb.1010:                             ;   in Loop: Header=BB12_1007 Depth=1
	s_trap 2
	ds_read_b64 v[2:3], v0
	s_waitcnt lgkmcnt(0)
	flat_load_dword v2, v[2:3] glc
	s_waitcnt vmcnt(0) lgkmcnt(0)
	buffer_invl2
	buffer_wbinvl1_vol
	v_cmp_ne_u32_e32 vcc, 0, v2
	s_and_saveexec_b64 s[22:23], vcc
	s_cbranch_execz .LBB12_1003
; %bb.1011:                             ;   in Loop: Header=BB12_1007 Depth=1
	v_or_b32_e32 v46, 64, v46
	s_xor_b64 s[20:21], exec, -1
	ds_write_b32 v0, v2
	s_trap 2
	s_branch .LBB12_1003
.LBB12_1012:
	s_or_b64 exec, exec, s[10:11]
.LBB12_1013:
	s_or_b64 exec, exec, s[6:7]
	v_and_b32_e32 v0, 0x2000, v46
	v_cmp_ne_u32_e32 vcc, 0, v0
	s_and_saveexec_b64 s[6:7], vcc
	s_cbranch_execz .LBB12_1015
; %bb.1014:
	s_trap 2
	ds_read_b64 v[0:1], v0
	v_accvgpr_read_b32 v2, a8
	v_accvgpr_read_b32 v3, a9
	s_waitcnt lgkmcnt(0)
	flat_store_dwordx2 v[2:3], v[0:1] offset:16
.LBB12_1015:
	s_or_b64 exec, exec, s[6:7]
	v_cmp_ne_u32_e32 vcc, 64, v17
	s_and_b64 exec, exec, vcc
	s_cbranch_execz .LBB12_1033
; %bb.1016:
	v_cmp_ne_u32_sdwa s[6:7], v17, v16 src0_sel:DWORD src1_sel:WORD_0
	s_and_saveexec_b64 s[10:11], s[6:7]
	s_xor_b64 s[6:7], exec, s[10:11]
	s_cbranch_execz .LBB12_1031
; %bb.1017:
	v_and_b32_e32 v0, 63, v31
	v_cmp_eq_u32_e32 vcc, 0, v0
	s_and_saveexec_b64 s[10:11], vcc
	s_cbranch_execz .LBB12_1030
; %bb.1018:
	s_mov_b64 s[14:15], exec
	v_mbcnt_lo_u32_b32 v0, s14, 0
	v_mbcnt_hi_u32_b32 v0, s15, v0
	v_cmp_eq_u32_e32 vcc, 0, v0
	s_waitcnt vmcnt(0) lgkmcnt(0)
	buffer_wbinvl1_vol
	s_and_saveexec_b64 s[12:13], vcc
	s_cbranch_execz .LBB12_1020
; %bb.1019:
	s_bcnt1_i32_b64 s14, s[14:15]
	v_mov_b32_e32 v0, s14
	v_mov_b32_e32 v1, 0
	ds_add_u64 v0, v[0:1]
	s_trap 2
.LBB12_1020:
	s_or_b64 exec, exec, s[12:13]
	v_ashrrev_i32_e32 v0, 31, v17
	v_lshrrev_b32_e32 v0, 26, v0
	v_add_u32_e32 v0, v17, v0
	v_ashrrev_i32_e32 v0, 6, v0
	s_trap 2
	ds_read_b64 v[2:3], v0
	v_ashrrev_i32_e32 v1, 31, v0
	v_add_co_u32_e32 v0, vcc, v32, v0
	v_addc_co_u32_e32 v1, vcc, v33, v1, vcc
	s_waitcnt lgkmcnt(0)
	v_cmp_lt_u64_e32 vcc, v[2:3], v[0:1]
	s_and_saveexec_b64 s[12:13], vcc
	s_cbranch_execz .LBB12_1029
; %bb.1021:
	s_mov_b32 s26, 0
	s_mov_b64 s[14:15], 0
                                        ; implicit-def: $sgpr16_sgpr17
                                        ; implicit-def: $sgpr18_sgpr19
	s_branch .LBB12_1023
.LBB12_1022:                            ;   in Loop: Header=BB12_1023 Depth=1
	s_or_b64 exec, exec, s[24:25]
	s_and_b64 s[20:21], exec, s[22:23]
	s_or_b64 s[14:15], s[20:21], s[14:15]
	s_andn2_b64 s[16:17], s[16:17], exec
	s_and_b64 s[20:21], s[18:19], exec
	s_or_b64 s[16:17], s[16:17], s[20:21]
	s_andn2_b64 exec, exec, s[14:15]
	s_cbranch_execz .LBB12_1027
.LBB12_1023:                            ; =>This Inner Loop Header: Depth=1
	s_add_i32 s26, s26, 1
	s_cmpk_lg_i32 s26, 0x2710
	s_cselect_b64 s[20:21], -1, 0
	s_and_b64 vcc, exec, s[20:21]
                                        ; implicit-def: $sgpr24_sgpr25
	s_cbranch_vccnz .LBB12_1025
; %bb.1024:                             ;   in Loop: Header=BB12_1023 Depth=1
	s_trap 2
	ds_read_b64 v[2:3], v0
	s_andn2_b64 s[20:21], s[20:21], exec
	s_mov_b32 s26, 0
	s_mov_b64 s[24:25], -1
	s_waitcnt lgkmcnt(0)
	flat_load_dword v2, v[2:3] glc
	s_waitcnt vmcnt(0) lgkmcnt(0)
	buffer_invl2
	buffer_wbinvl1_vol
	v_cmp_eq_u32_e32 vcc, 0, v2
	s_and_b64 s[22:23], vcc, exec
	s_or_b64 s[20:21], s[20:21], s[22:23]
.LBB12_1025:                            ;   in Loop: Header=BB12_1023 Depth=1
	s_andn2_b64 s[18:19], s[18:19], exec
	s_and_b64 s[24:25], s[24:25], exec
	s_mov_b64 s[22:23], -1
	s_or_b64 s[18:19], s[18:19], s[24:25]
	s_and_saveexec_b64 s[24:25], s[20:21]
	s_cbranch_execz .LBB12_1022
; %bb.1026:                             ;   in Loop: Header=BB12_1023 Depth=1
	s_sleep 1
	s_trap 2
	ds_read_b64 v[2:3], v0
	s_andn2_b64 s[18:19], s[18:19], exec
	s_waitcnt lgkmcnt(0)
	v_cmp_ge_u64_e32 vcc, v[2:3], v[0:1]
	s_orn2_b64 s[22:23], vcc, exec
	s_branch .LBB12_1022
.LBB12_1027:
	s_or_b64 exec, exec, s[14:15]
	s_and_saveexec_b64 s[14:15], s[16:17]
	s_xor_b64 s[14:15], exec, s[14:15]
	s_cbranch_execz .LBB12_1029
; %bb.1028:
	v_mov_b32_e32 v0, 1
	ds_write_b32 v0, v0
	s_trap 2
.LBB12_1029:
	s_or_b64 exec, exec, s[12:13]
	;;#ASMSTART
	s_wakeup
	;;#ASMEND
.LBB12_1030:
	s_or_b64 exec, exec, s[10:11]
.LBB12_1031:
	s_andn2_saveexec_b64 s[6:7], s[6:7]
	s_cbranch_execz .LBB12_1033
; %bb.1032:
	s_waitcnt vmcnt(0) lgkmcnt(0)
	buffer_wbinvl1_vol
	s_barrier
.LBB12_1033:
	s_or_b64 exec, exec, s[4:5]
.LBB12_1034:
	s_andn2_saveexec_b64 s[26:27], s[46:47]
	s_cbranch_execz .LBB12_1036
; %bb.1035:
	s_getpc_b64 s[4:5]
	s_add_u32 s4, s4, __PRETTY_FUNCTION__._ZN10PrimitivesIa7FuncSumIaE12FanSymmetricILi1EELi0E11ProtoSimpleILi1ELi1ELi0ELi4ELi0ELi0EELi0ELb0ELi0ELi0ELi0EEC2EiiPKiS8_PKvPvmhhhP15ncclDevWorkCollP14ncclDevWorkP2pii@rel32@lo+4
	s_addc_u32 s5, s5, __PRETTY_FUNCTION__._ZN10PrimitivesIa7FuncSumIaE12FanSymmetricILi1EELi0E11ProtoSimpleILi1ELi1ELi0ELi4ELi0ELi0EELi0ELb0ELi0ELi0ELi0EEC2EiiPKiS8_PKvPvmhhhP15ncclDevWorkCollP14ncclDevWorkP2pii@rel32@hi+12
	v_mov_b32_e32 v0, s4
	v_mov_b32_e32 v1, s5
	s_getpc_b64 s[6:7]
	s_add_u32 s6, s6, __assert_fail@rel32@lo+4
	s_addc_u32 s7, s7, __assert_fail@rel32@hi+12
	s_swappc_b64 s[30:31], s[6:7]
	; divergent unreachable
.LBB12_1036:
	s_or_b64 exec, exec, s[26:27]
.LBB12_1037:
	s_or_b64 exec, exec, s[44:45]
	buffer_load_dword a39, off, s[0:3], s33 ; 4-byte Folded Reload
	buffer_load_dword a38, off, s[0:3], s33 offset:4 ; 4-byte Folded Reload
	buffer_load_dword a37, off, s[0:3], s33 offset:8 ; 4-byte Folded Reload
	;; [unrolled: 1-line block ×12, first 2 shown]
	s_waitcnt lgkmcnt(0)
	buffer_load_dword v57, off, s[0:3], s33 offset:52 ; 4-byte Folded Reload
	buffer_load_dword v56, off, s[0:3], s33 offset:56 ; 4-byte Folded Reload
	;; [unrolled: 1-line block ×10, first 2 shown]
	v_readlane_b32 s30, v63, 52
	v_readlane_b32 s31, v63, 53
	;; [unrolled: 1-line block ×55, first 2 shown]
	s_or_saveexec_b64 s[6:7], -1
	buffer_load_dword v63, off, s[0:3], s33 offset:108 ; 4-byte Folded Reload
	s_mov_b64 exec, s[6:7]
	s_addk_i32 s32, 0xe000
	s_mov_b32 s33, s4
	s_waitcnt vmcnt(0)
	s_setpc_b64 s[30:31]
.Lfunc_end12:
	.size	_ZN12_GLOBAL__N_17runRingIa7FuncSumIaE11ProtoSimpleILi1ELi1ELi0ELi4ELi0ELi0EELi0ELi4ELi0EEEviiP15ncclDevWorkColl, .Lfunc_end12-_ZN12_GLOBAL__N_17runRingIa7FuncSumIaE11ProtoSimpleILi1ELi1ELi0ELi4ELi0ELi0EELi0ELi4ELi0EEEviiP15ncclDevWorkColl
                                        ; -- End function
	.section	.AMDGPU.csdata,"",@progbits
; Function info:
; codeLenInByte = 37628
; NumSgprs: 90
; NumVgprs: 64
; NumAgprs: 40
; TotalNumVgprs: 104
; ScratchSize: 192
; MemoryBound: 1
	.text
	.p2align	2                               ; -- Begin function _Z46ncclDevFunc_Broadcast_RING_SIMPLE_Sum_i8_0_0_4v
	.type	_Z46ncclDevFunc_Broadcast_RING_SIMPLE_Sum_i8_0_0_4v,@function
_Z46ncclDevFunc_Broadcast_RING_SIMPLE_Sum_i8_0_0_4v: ; @_Z46ncclDevFunc_Broadcast_RING_SIMPLE_Sum_i8_0_0_4v
; %bb.0:
	s_waitcnt vmcnt(0) expcnt(0) lgkmcnt(0)
	s_mov_b32 s4, s33
	s_mov_b32 s33, s32
	s_or_saveexec_b64 s[6:7], -1
	buffer_store_dword v43, off, s[0:3], s33 offset:16 ; 4-byte Folded Spill
	s_mov_b64 exec, s[6:7]
	v_writelane_b32 v43, s4, 62
	s_addk_i32 s32, 0x800
	buffer_store_dword v40, off, s[0:3], s33 offset:12 ; 4-byte Folded Spill
	buffer_store_dword v41, off, s[0:3], s33 offset:8 ; 4-byte Folded Spill
	;; [unrolled: 1-line block ×3, first 2 shown]
	buffer_store_dword v63, off, s[0:3], s33 ; 4-byte Folded Spill
	v_writelane_b32 v43, s34, 0
	v_writelane_b32 v43, s35, 1
	;; [unrolled: 1-line block ×62, first 2 shown]
	s_trap 2
	ds_read_b32 v0, v0
	v_mov_b32_e32 v40, v31
	s_mov_b32 s88, s12
	s_mov_b64 s[86:87], s[8:9]
	s_waitcnt lgkmcnt(0)
	v_cmp_gt_i32_e32 vcc, 1, v0
	s_cbranch_vccnz .LBB13_8
; %bb.1:
	s_mov_b32 s89, 0
	v_and_b32_e32 v41, 0x3ff, v40
	s_mov_b64 s[90:91], src_shared_base
	v_mov_b32_e32 v42, 6
	s_branch .LBB13_3
.LBB13_2:                               ;   in Loop: Header=BB13_3 Depth=1
	s_or_b64 exec, exec, s[92:93]
	s_trap 2
	ds_read_b32 v0, v0
	s_add_i32 s89, s89, 1
	s_waitcnt lgkmcnt(0)
	v_cmp_lt_i32_e32 vcc, s89, v0
	s_cbranch_vccz .LBB13_8
.LBB13_3:                               ; =>This Inner Loop Header: Depth=1
	s_trap 2
	ds_read_b32 v0, v0
	s_cmp_eq_u32 s89, 0
	s_cbranch_scc1 .LBB13_6
; %bb.4:                                ;   in Loop: Header=BB13_3 Depth=1
	s_trap 2
	s_waitcnt lgkmcnt(0)
	ds_read_b32 v1, v0
	s_waitcnt lgkmcnt(0)
	v_xor_b32_e32 v1, v1, v0
	v_and_b32_e32 v1, 0xff0000, v1
	v_cmp_eq_u32_e32 vcc, 0, v1
	s_cbranch_vccnz .LBB13_6
; %bb.5:                                ;   in Loop: Header=BB13_3 Depth=1
	s_barrier
	ds_read_b32 v0, v0
.LBB13_6:                               ;   in Loop: Header=BB13_3 Depth=1
	s_waitcnt lgkmcnt(0)
	v_lshlrev_b32_sdwa v1, v42, v0 dst_sel:DWORD dst_unused:UNUSED_PAD src0_sel:DWORD src1_sel:BYTE_2
	v_cmp_lt_u32_e32 vcc, v41, v1
	s_and_saveexec_b64 s[92:93], vcc
	s_cbranch_execz .LBB13_2
; %bb.7:                                ;   in Loop: Header=BB13_3 Depth=1
	s_mov_b64 s[8:9], s[86:87]
	s_mov_b32 s12, s88
	v_mov_b32_e32 v31, v40
	v_mov_b32_e32 v0, v41
	;; [unrolled: 1-line block ×3, first 2 shown]
	s_getpc_b64 s[4:5]
	s_add_u32 s4, s4, _ZN12_GLOBAL__N_17runRingIa7FuncSumIaE11ProtoSimpleILi1ELi1ELi0ELi4ELi0ELi0EELi0ELi4ELi0EEEviiP15ncclDevWorkColl@rel32@lo+4
	s_addc_u32 s5, s5, _ZN12_GLOBAL__N_17runRingIa7FuncSumIaE11ProtoSimpleILi1ELi1ELi0ELi4ELi0ELi0EELi0ELi4ELi0EEEviiP15ncclDevWorkColl@rel32@hi+12
	s_swappc_b64 s[30:31], s[4:5]
	s_branch .LBB13_2
.LBB13_8:
	buffer_load_dword v63, off, s[0:3], s33 ; 4-byte Folded Reload
	buffer_load_dword v42, off, s[0:3], s33 offset:4 ; 4-byte Folded Reload
	buffer_load_dword v41, off, s[0:3], s33 offset:8 ; 4-byte Folded Reload
	;; [unrolled: 1-line block ×3, first 2 shown]
	v_readlane_b32 s30, v43, 60
	v_readlane_b32 s31, v43, 61
	;; [unrolled: 1-line block ×63, first 2 shown]
	s_or_saveexec_b64 s[6:7], -1
	buffer_load_dword v43, off, s[0:3], s33 offset:16 ; 4-byte Folded Reload
	s_mov_b64 exec, s[6:7]
	s_addk_i32 s32, 0xf800
	s_mov_b32 s33, s4
	s_waitcnt vmcnt(0)
	s_setpc_b64 s[30:31]
.Lfunc_end13:
	.size	_Z46ncclDevFunc_Broadcast_RING_SIMPLE_Sum_i8_0_0_4v, .Lfunc_end13-_Z46ncclDevFunc_Broadcast_RING_SIMPLE_Sum_i8_0_0_4v
                                        ; -- End function
	.section	.AMDGPU.csdata,"",@progbits
; Function info:
; codeLenInByte = 1372
; NumSgprs: 98
; NumVgprs: 64
; NumAgprs: 40
; TotalNumVgprs: 104
; ScratchSize: 224
; MemoryBound: 0
	.text
	.p2alignl 6, 3212836864
	.fill 256, 4, 3212836864
	.type	__const.__assert_fail.fmt,@object ; @__const.__assert_fail.fmt
	.section	.rodata.str1.16,"aMS",@progbits,1
	.p2align	4, 0x0
__const.__assert_fail.fmt:
	.asciz	"%s:%u: %s: Device-side assertion `%s' failed.\n"
	.size	__const.__assert_fail.fmt, 47

	.type	.str.2,@object                  ; @.str.2
	.section	.rodata.str1.1,"aMS",@progbits,1
.str.2:
	.asciz	"2*(nrecv+nsend) <= nthreads"
	.size	.str.2, 28

	.type	.str.3,@object                  ; @.str.3
.str.3:
	.asciz	"/root/src/amdgpu-assembly/repos/ROCm__rccl/hipify/src/device/prims_simple.h"
	.size	.str.3, 76

	.type	__PRETTY_FUNCTION__._ZN10PrimitivesIa7FuncSumIaE12FanSymmetricILi1EELi0E11ProtoSimpleILi1ELi1ELi0ELi1ELi0ELi0EELi0ELb0ELi0ELi0ELi0EEC2EiiPKiS8_PKvPvmhhhP15ncclDevWorkCollP14ncclDevWorkP2pii,@object ; @__PRETTY_FUNCTION__._ZN10PrimitivesIa7FuncSumIaE12FanSymmetricILi1EELi0E11ProtoSimpleILi1ELi1ELi0ELi1ELi0ELi0EELi0ELb0ELi0ELi0ELi0EEC2EiiPKiS8_PKvPvmhhhP15ncclDevWorkCollP14ncclDevWorkP2pii
__PRETTY_FUNCTION__._ZN10PrimitivesIa7FuncSumIaE12FanSymmetricILi1EELi0E11ProtoSimpleILi1ELi1ELi0ELi1ELi0ELi0EELi0ELb0ELi0ELi0ELi0EEC2EiiPKiS8_PKvPvmhhhP15ncclDevWorkCollP14ncclDevWorkP2pii:
	.asciz	"Primitives<signed char, FuncSum<signed char>, FanSymmetric<1>, 0, ProtoSimple<1, 1, 0, 1>, 0>::Primitives(int, int, const int *, const int *, const void *, void *, uint64_t, uint8_t, uint8_t, uint8_t, struct ncclDevWorkColl *, struct ncclDevWorkP2p *, int, int) [T = signed char, RedOp = FuncSum<signed char>, Fan = FanSymmetric<1>, Direct = 0, Proto = ProtoSimple<1, 1, 0, 1>, P2p = 0, isNetOffload = false, Metadata = 0, Pipeline = 0, useAcc = 0]"
	.size	__PRETTY_FUNCTION__._ZN10PrimitivesIa7FuncSumIaE12FanSymmetricILi1EELi0E11ProtoSimpleILi1ELi1ELi0ELi1ELi0ELi0EELi0ELb0ELi0ELi0ELi0EEC2EiiPKiS8_PKvPvmhhhP15ncclDevWorkCollP14ncclDevWorkP2pii, 449

	.type	__PRETTY_FUNCTION__._ZN10PrimitivesIa7FuncSumIaE12FanSymmetricILi1EELi0E11ProtoSimpleILi1ELi1ELi0ELi2ELi0ELi0EELi0ELb0ELi0ELi0ELi0EEC2EiiPKiS8_PKvPvmhhhP15ncclDevWorkCollP14ncclDevWorkP2pii,@object ; @__PRETTY_FUNCTION__._ZN10PrimitivesIa7FuncSumIaE12FanSymmetricILi1EELi0E11ProtoSimpleILi1ELi1ELi0ELi2ELi0ELi0EELi0ELb0ELi0ELi0ELi0EEC2EiiPKiS8_PKvPvmhhhP15ncclDevWorkCollP14ncclDevWorkP2pii
__PRETTY_FUNCTION__._ZN10PrimitivesIa7FuncSumIaE12FanSymmetricILi1EELi0E11ProtoSimpleILi1ELi1ELi0ELi2ELi0ELi0EELi0ELb0ELi0ELi0ELi0EEC2EiiPKiS8_PKvPvmhhhP15ncclDevWorkCollP14ncclDevWorkP2pii:
	.asciz	"Primitives<signed char, FuncSum<signed char>, FanSymmetric<1>, 0, ProtoSimple<1, 1, 0, 2>, 0>::Primitives(int, int, const int *, const int *, const void *, void *, uint64_t, uint8_t, uint8_t, uint8_t, struct ncclDevWorkColl *, struct ncclDevWorkP2p *, int, int) [T = signed char, RedOp = FuncSum<signed char>, Fan = FanSymmetric<1>, Direct = 0, Proto = ProtoSimple<1, 1, 0, 2>, P2p = 0, isNetOffload = false, Metadata = 0, Pipeline = 0, useAcc = 0]"
	.size	__PRETTY_FUNCTION__._ZN10PrimitivesIa7FuncSumIaE12FanSymmetricILi1EELi0E11ProtoSimpleILi1ELi1ELi0ELi2ELi0ELi0EELi0ELb0ELi0ELi0ELi0EEC2EiiPKiS8_PKvPvmhhhP15ncclDevWorkCollP14ncclDevWorkP2pii, 449

	.type	__PRETTY_FUNCTION__._ZN10PrimitivesIa7FuncSumIaE12FanSymmetricILi1EELi0E11ProtoSimpleILi1ELi1ELi0ELi4ELi0ELi0EELi0ELb0ELi0ELi0ELi0EEC2EiiPKiS8_PKvPvmhhhP15ncclDevWorkCollP14ncclDevWorkP2pii,@object ; @__PRETTY_FUNCTION__._ZN10PrimitivesIa7FuncSumIaE12FanSymmetricILi1EELi0E11ProtoSimpleILi1ELi1ELi0ELi4ELi0ELi0EELi0ELb0ELi0ELi0ELi0EEC2EiiPKiS8_PKvPvmhhhP15ncclDevWorkCollP14ncclDevWorkP2pii
__PRETTY_FUNCTION__._ZN10PrimitivesIa7FuncSumIaE12FanSymmetricILi1EELi0E11ProtoSimpleILi1ELi1ELi0ELi4ELi0ELi0EELi0ELb0ELi0ELi0ELi0EEC2EiiPKiS8_PKvPvmhhhP15ncclDevWorkCollP14ncclDevWorkP2pii:
	.asciz	"Primitives<signed char, FuncSum<signed char>, FanSymmetric<1>, 0, ProtoSimple<1, 1, 0, 4>, 0>::Primitives(int, int, const int *, const int *, const void *, void *, uint64_t, uint8_t, uint8_t, uint8_t, struct ncclDevWorkColl *, struct ncclDevWorkP2p *, int, int) [T = signed char, RedOp = FuncSum<signed char>, Fan = FanSymmetric<1>, Direct = 0, Proto = ProtoSimple<1, 1, 0, 4>, P2p = 0, isNetOffload = false, Metadata = 0, Pipeline = 0, useAcc = 0]"
	.size	__PRETTY_FUNCTION__._ZN10PrimitivesIa7FuncSumIaE12FanSymmetricILi1EELi0E11ProtoSimpleILi1ELi1ELi0ELi4ELi0ELi0EELi0ELb0ELi0ELi0ELi0EEC2EiiPKiS8_PKvPvmhhhP15ncclDevWorkCollP14ncclDevWorkP2pii, 449

	.type	__hip_cuid_587442223fc04bba,@object ; @__hip_cuid_587442223fc04bba
	.section	.bss,"aw",@nobits
	.globl	__hip_cuid_587442223fc04bba
__hip_cuid_587442223fc04bba:
	.byte	0                               ; 0x0
	.size	__hip_cuid_587442223fc04bba, 1

	.ident	"AMD clang version 19.0.0git (https://github.com/RadeonOpenCompute/llvm-project roc-6.4.0 25133 c7fe45cf4b819c5991fe208aaa96edf142730f1d)"
	.section	".note.GNU-stack","",@progbits
	.addrsig
	.addrsig_sym _Z42ncclDevFunc_Broadcast_RING_LL_Sum_i8_0_0_1v
	.addrsig_sym _Z46ncclDevFunc_Broadcast_RING_SIMPLE_Sum_i8_0_0_1v
	.addrsig_sym _Z42ncclDevFunc_Broadcast_RING_LL_Sum_i8_0_0_2v
	.addrsig_sym _Z46ncclDevFunc_Broadcast_RING_SIMPLE_Sum_i8_0_0_2v
	.addrsig_sym _Z42ncclDevFunc_Broadcast_RING_LL_Sum_i8_0_0_4v
	.addrsig_sym _Z46ncclDevFunc_Broadcast_RING_SIMPLE_Sum_i8_0_0_4v
	.addrsig_sym ncclShmem
	.addrsig_sym __hip_cuid_587442223fc04bba
	.amdgpu_metadata
---
amdhsa.kernels:  []
amdhsa.target:   amdgcn-amd-amdhsa--gfx90a
amdhsa.version:
  - 1
  - 2
...

	.end_amdgpu_metadata
